;; amdgpu-corpus repo=ROCm/rocFFT kind=compiled arch=gfx1201 opt=O3
	.text
	.amdgcn_target "amdgcn-amd-amdhsa--gfx1201"
	.amdhsa_code_object_version 6
	.protected	bluestein_single_back_len3072_dim1_sp_op_CI_CI ; -- Begin function bluestein_single_back_len3072_dim1_sp_op_CI_CI
	.globl	bluestein_single_back_len3072_dim1_sp_op_CI_CI
	.p2align	8
	.type	bluestein_single_back_len3072_dim1_sp_op_CI_CI,@function
bluestein_single_back_len3072_dim1_sp_op_CI_CI: ; @bluestein_single_back_len3072_dim1_sp_op_CI_CI
; %bb.0:
	s_load_b128 s[16:19], s[0:1], 0x28
	s_mov_b32 s2, ttmp9
	s_mov_b32 s3, 0
	s_mov_b32 s5, exec_lo
	s_wait_kmcnt 0x0
	v_cmpx_lt_u64_e64 s[2:3], s[16:17]
	s_cbranch_execz .LBB0_2
; %bb.1:
	s_clause 0x1
	s_load_b128 s[4:7], s[0:1], 0x18
	s_load_b128 s[8:11], s[0:1], 0x0
	v_dual_mov_b32 v74, s3 :: v_dual_mov_b32 v73, s2
	v_or_b32_e32 v98, 0x100, v0
	v_lshlrev_b32_e32 v110, 3, v0
	v_mul_u32_u24_e32 v29, 6, v0
	v_mul_lo_u16 v26, 0xab, v0
	v_or_b32_e32 v25, 0x200, v0
	v_mul_u32_u24_e32 v27, 0x2aab, v98
	s_load_b64 s[0:1], s[0:1], 0x38
	s_delay_alu instid0(VALU_DEP_3) | instskip(NEXT) | instid1(VALU_DEP_3)
	v_lshrrev_b16 v31, 10, v26
	v_mul_u32_u24_e32 v28, 0x2aab, v25
	s_delay_alu instid0(VALU_DEP_3) | instskip(SKIP_1) | instid1(VALU_DEP_4)
	v_lshrrev_b32_e32 v32, 16, v27
	v_mul_u32_u24_e32 v27, 6, v98
	v_mul_lo_u16 v30, v31, 6
	s_delay_alu instid0(VALU_DEP_4) | instskip(NEXT) | instid1(VALU_DEP_4)
	v_lshrrev_b32_e32 v33, 16, v28
	v_mul_lo_u16 v28, v32, 6
	s_wait_kmcnt 0x0
	s_load_b128 s[12:15], s[4:5], 0x0
	s_clause 0x3
	global_load_b64 v[49:50], v110, s[8:9]
	global_load_b64 v[51:52], v110, s[8:9] offset:8192
	global_load_b64 v[53:54], v110, s[8:9] offset:16384
	;; [unrolled: 1-line block ×3, first 2 shown]
	v_sub_nc_u16 v34, v0, v30
	v_mul_lo_u16 v30, v33, 6
	v_sub_nc_u16 v35, v98, v28
	v_lshlrev_b32_e32 v111, 3, v27
	s_delay_alu instid0(VALU_DEP_4) | instskip(NEXT) | instid1(VALU_DEP_4)
	v_and_b32_e32 v34, 0xff, v34
	v_sub_nc_u16 v36, v25, v30
	s_wait_kmcnt 0x0
	v_mad_co_u64_u32 v[1:2], null, s14, v73, 0
	v_mad_co_u64_u32 v[3:4], null, s12, v0, 0
	s_lshl_b64 s[2:3], s[12:13], 12
	s_mul_i32 s4, s13, 0xffffb800
	s_delay_alu instid0(SALU_CYCLE_1) | instskip(NEXT) | instid1(VALU_DEP_1)
	s_sub_co_i32 s4, s4, s12
	v_mad_co_u64_u32 v[5:6], null, s15, v73, v[2:3]
	s_delay_alu instid0(VALU_DEP_1) | instskip(SKIP_1) | instid1(VALU_DEP_1)
	v_mad_co_u64_u32 v[6:7], null, s13, v0, v[4:5]
	v_mov_b32_e32 v2, v5
	v_lshlrev_b64_e32 v[1:2], 3, v[1:2]
	s_delay_alu instid0(VALU_DEP_3) | instskip(NEXT) | instid1(VALU_DEP_1)
	v_mov_b32_e32 v4, v6
	v_lshlrev_b64_e32 v[3:4], 3, v[3:4]
	s_delay_alu instid0(VALU_DEP_3) | instskip(NEXT) | instid1(VALU_DEP_4)
	v_add_co_u32 v1, vcc_lo, s18, v1
	v_add_co_ci_u32_e32 v2, vcc_lo, s19, v2, vcc_lo
	s_delay_alu instid0(VALU_DEP_2) | instskip(SKIP_1) | instid1(VALU_DEP_2)
	v_add_co_u32 v1, vcc_lo, v1, v3
	s_wait_alu 0xfffd
	v_add_co_ci_u32_e32 v2, vcc_lo, v2, v4, vcc_lo
	s_wait_alu 0xfffe
	s_delay_alu instid0(VALU_DEP_2) | instskip(SKIP_1) | instid1(VALU_DEP_2)
	v_add_co_u32 v3, vcc_lo, v1, s2
	s_wait_alu 0xfffd
	v_add_co_ci_u32_e32 v4, vcc_lo, s3, v2, vcc_lo
	global_load_b64 v[1:2], v[1:2], off
	v_add_co_u32 v5, vcc_lo, v3, s2
	s_wait_alu 0xfffd
	v_add_co_ci_u32_e32 v6, vcc_lo, s3, v4, vcc_lo
	s_delay_alu instid0(VALU_DEP_2) | instskip(SKIP_1) | instid1(VALU_DEP_2)
	v_add_co_u32 v7, vcc_lo, v5, s2
	s_wait_alu 0xfffd
	v_add_co_ci_u32_e32 v8, vcc_lo, s3, v6, vcc_lo
	s_delay_alu instid0(VALU_DEP_2) | instskip(SKIP_1) | instid1(VALU_DEP_2)
	;; [unrolled: 4-line block ×3, first 2 shown]
	v_add_co_u32 v11, vcc_lo, v9, s2
	s_wait_alu 0xfffd
	v_add_co_ci_u32_e32 v12, vcc_lo, s3, v10, vcc_lo
	s_delay_alu instid0(VALU_DEP_1) | instskip(NEXT) | instid1(VALU_DEP_1)
	v_mad_co_u64_u32 v[13:14], null, 0xffffb800, s12, v[11:12]
	v_add_co_u32 v15, vcc_lo, v13, s2
	s_wait_loadcnt 0x0
	v_mul_f32_e32 v27, v2, v50
	s_clause 0x2
	global_load_b64 v[57:58], v110, s[8:9] offset:6144
	global_load_b64 v[61:62], v110, s[8:9] offset:4096
	;; [unrolled: 1-line block ×3, first 2 shown]
	global_load_b64 v[3:4], v[3:4], off
	v_lshlrev_b32_e32 v112, 3, v29
	global_load_b64 v[5:6], v[5:6], off
	s_clause 0x2
	global_load_b64 v[63:64], v110, s[8:9] offset:14336
	global_load_b64 v[67:68], v110, s[8:9] offset:12288
	;; [unrolled: 1-line block ×3, first 2 shown]
	s_clause 0x1
	global_load_b64 v[7:8], v[7:8], off
	global_load_b64 v[9:10], v[9:10], off
	;; [unrolled: 1-line block ×3, first 2 shown]
	v_mul_f32_e32 v28, v1, v50
	v_fmac_f32_e32 v27, v1, v49
	s_wait_loadcnt 0x6
	v_mul_f32_e32 v1, v6, v52
	v_mul_f32_e32 v29, v4, v62
	v_add_nc_u32_e32 v14, s4, v14
	v_mul_f32_e32 v30, v3, v62
	v_fma_f32 v28, v2, v49, -v28
	s_delay_alu instid0(VALU_DEP_4)
	v_dual_mul_f32 v2, v5, v52 :: v_dual_fmac_f32 v29, v3, v61
	s_wait_alu 0xfffd
	v_add_co_ci_u32_e32 v16, vcc_lo, s3, v14, vcc_lo
	v_add_co_u32 v17, vcc_lo, v15, s2
	global_load_b64 v[13:14], v[13:14], off
	s_wait_alu 0xfffd
	v_add_co_ci_u32_e32 v18, vcc_lo, s3, v16, vcc_lo
	v_add_co_u32 v19, vcc_lo, v17, s2
	global_load_b64 v[15:16], v[15:16], off
	;; [unrolled: 4-line block ×3, first 2 shown]
	s_wait_alu 0xfffd
	v_add_co_ci_u32_e32 v22, vcc_lo, s3, v20, vcc_lo
	global_load_b64 v[19:20], v[19:20], off
	v_add_co_u32 v23, vcc_lo, v21, s2
	s_wait_alu 0xfffd
	v_add_co_ci_u32_e32 v24, vcc_lo, s3, v22, vcc_lo
	s_clause 0x1
	global_load_b64 v[69:70], v110, s[8:9] offset:22528
	global_load_b64 v[71:72], v110, s[8:9] offset:18432
	global_load_b64 v[21:22], v[21:22], off
	global_load_b64 v[23:24], v[23:24], off
	s_wait_loadcnt 0xa
	v_mul_f32_e32 v3, v8, v68
	v_fma_f32 v30, v4, v61, -v30
	v_dual_mul_f32 v4, v7, v68 :: v_dual_fmac_f32 v1, v5, v51
	s_wait_loadcnt 0x9
	v_mul_f32_e32 v5, v10, v54
	v_fma_f32 v2, v6, v51, -v2
	v_dual_fmac_f32 v3, v7, v67 :: v_dual_mul_f32 v6, v9, v54
	v_fma_f32 v4, v8, v67, -v4
	s_delay_alu instid0(VALU_DEP_4)
	v_fmac_f32_e32 v5, v9, v53
	s_wait_loadcnt 0x8
	v_mul_f32_e32 v9, v12, v56
	v_mul_f32_e32 v37, v11, v56
	v_fma_f32 v6, v10, v53, -v6
	s_load_b128 s[4:7], s[6:7], 0x0
	s_delay_alu instid0(VALU_DEP_3) | instskip(NEXT) | instid1(VALU_DEP_3)
	v_fmac_f32_e32 v9, v11, v55
	v_fma_f32 v10, v12, v55, -v37
	s_wait_loadcnt 0x7
	v_mul_f32_e32 v7, v14, v60
	v_mul_f32_e32 v8, v13, v60
	s_delay_alu instid0(VALU_DEP_2) | instskip(NEXT) | instid1(VALU_DEP_2)
	v_fmac_f32_e32 v7, v13, v59
	v_fma_f32 v8, v14, v59, -v8
	s_wait_loadcnt 0x6
	v_mul_f32_e32 v11, v16, v58
	v_mul_f32_e32 v12, v15, v58
	s_wait_loadcnt 0x4
	v_mul_f32_e32 v14, v19, v64
	ds_store_2addr_stride64_b64 v110, v[27:28], v[7:8] offset1:4
	v_mul_f32_e32 v8, v17, v66
	v_mul_lo_u16 v27, v35, 24
	v_mul_f32_e32 v7, v18, v66
	v_mul_f32_e32 v13, v20, v64
	v_fma_f32 v12, v16, v57, -v12
	s_wait_loadcnt 0x1
	v_dual_mul_f32 v16, v21, v72 :: v_dual_fmac_f32 v11, v15, v57
	v_mul_f32_e32 v15, v22, v72
	v_fmac_f32_e32 v7, v17, v65
	v_fma_f32 v8, v18, v65, -v8
	s_wait_loadcnt 0x0
	v_mul_f32_e32 v17, v24, v70
	v_mul_f32_e32 v18, v23, v70
	v_fmac_f32_e32 v13, v19, v63
	v_fma_f32 v14, v20, v63, -v14
	v_fmac_f32_e32 v15, v21, v71
	v_fma_f32 v16, v22, v71, -v16
	;; [unrolled: 2-line block ×3, first 2 shown]
	ds_store_2addr_stride64_b64 v110, v[29:30], v[11:12] offset0:8 offset1:12
	ds_store_2addr_stride64_b64 v110, v[1:2], v[7:8] offset0:16 offset1:20
	;; [unrolled: 1-line block ×5, first 2 shown]
	global_wb scope:SCOPE_SE
	s_wait_dscnt 0x0
	s_wait_kmcnt 0x0
	s_barrier_signal -1
	s_barrier_wait -1
	global_inv scope:SCOPE_SE
	ds_load_2addr_stride64_b64 v[1:4], v110 offset1:4
	ds_load_2addr_stride64_b64 v[5:8], v110 offset0:16 offset1:20
	ds_load_2addr_stride64_b64 v[9:12], v110 offset0:32 offset1:36
	;; [unrolled: 1-line block ×5, first 2 shown]
	v_mul_lo_u16 v29, v36, 24
	v_and_b32_e32 v30, 0xffff, v27
	v_mad_co_u64_u32 v[27:28], null, v34, 24, s[10:11]
	global_wb scope:SCOPE_SE
	s_wait_dscnt 0x0
	v_and_b32_e32 v37, 0xffff, v29
	v_add_co_u32 v29, s2, s10, v30
	s_wait_alu 0xf1ff
	v_add_co_ci_u32_e64 v30, null, s11, 0, s2
	s_barrier_signal -1
	s_barrier_wait -1
	global_inv scope:SCOPE_SE
	v_dual_add_f32 v74, v4, v8 :: v_dual_add_f32 v39, v5, v9
	v_add_f32_e32 v38, v1, v5
	v_sub_f32_e32 v40, v6, v10
	v_dual_add_f32 v41, v2, v6 :: v_dual_add_f32 v76, v19, v23
	v_dual_add_f32 v6, v6, v10 :: v_dual_sub_f32 v5, v5, v9
	v_add_f32_e32 v78, v16, v20
	v_add_f32_e32 v42, v13, v17
	v_dual_add_f32 v43, v17, v21 :: v_dual_sub_f32 v44, v18, v22
	v_add_f32_e32 v46, v3, v7
	v_sub_f32_e32 v48, v8, v12
	v_dual_add_f32 v8, v8, v12 :: v_dual_add_f32 v45, v14, v18
	v_add_f32_e32 v18, v18, v22
	v_fma_f32 v1, -0.5, v39, v1
	v_add_f32_e32 v75, v15, v19
	v_sub_f32_e32 v77, v20, v24
	v_dual_add_f32 v20, v20, v24 :: v_dual_sub_f32 v17, v17, v21
	v_dual_add_f32 v47, v7, v11 :: v_dual_add_f32 v10, v41, v10
	s_delay_alu instid0(VALU_DEP_2)
	v_dual_sub_f32 v7, v7, v11 :: v_dual_fmac_f32 v16, -0.5, v20
	v_add_f32_e32 v9, v38, v9
	v_fma_f32 v2, -0.5, v6, v2
	v_sub_f32_e32 v19, v19, v23
	v_fma_f32 v38, -0.5, v43, v13
	v_fma_f32 v18, -0.5, v18, v14
	v_dual_fmac_f32 v4, -0.5, v8 :: v_dual_add_f32 v13, v45, v22
	v_add_f32_e32 v22, v46, v11
	s_delay_alu instid0(VALU_DEP_3)
	v_dual_add_f32 v21, v42, v21 :: v_dual_fmamk_f32 v42, v17, 0xbf5db3d7, v18
	v_fma_f32 v15, -0.5, v76, v15
	v_fma_f32 v3, -0.5, v47, v3
	v_dual_add_f32 v39, v74, v12 :: v_dual_fmac_f32 v18, 0x3f5db3d7, v17
	v_dual_add_f32 v8, v75, v23 :: v_dual_add_f32 v23, v78, v24
	v_fmamk_f32 v24, v40, 0x3f5db3d7, v1
	v_dual_fmac_f32 v1, 0xbf5db3d7, v40 :: v_dual_fmamk_f32 v40, v5, 0xbf5db3d7, v2
	v_fmac_f32_e32 v2, 0x3f5db3d7, v5
	v_dual_add_f32 v6, v10, v13 :: v_dual_fmamk_f32 v41, v44, 0x3f5db3d7, v38
	v_sub_f32_e32 v12, v10, v13
	v_dual_fmac_f32 v38, 0xbf5db3d7, v44 :: v_dual_add_f32 v5, v9, v21
	v_dual_sub_f32 v11, v9, v21 :: v_dual_fmamk_f32 v44, v7, 0xbf5db3d7, v4
	v_dual_fmac_f32 v4, 0x3f5db3d7, v7 :: v_dual_fmamk_f32 v7, v77, 0x3f5db3d7, v15
	v_fmamk_f32 v9, v19, 0xbf5db3d7, v16
	v_dual_fmac_f32 v16, 0x3f5db3d7, v19 :: v_dual_fmamk_f32 v43, v48, 0x3f5db3d7, v3
	v_dual_add_f32 v14, v39, v23 :: v_dual_fmac_f32 v3, 0xbf5db3d7, v48
	v_dual_sub_f32 v20, v39, v23 :: v_dual_sub_f32 v19, v22, v8
	s_delay_alu instid0(VALU_DEP_3) | instskip(SKIP_3) | instid1(VALU_DEP_3)
	v_mul_f32_e32 v74, -0.5, v16
	v_dual_add_f32 v13, v22, v8 :: v_dual_mul_f32 v46, 0x3f5db3d7, v9
	v_dual_mul_f32 v22, -0.5, v38 :: v_dual_fmac_f32 v15, 0xbf5db3d7, v77
	v_mul_f32_e32 v48, 0xbf5db3d7, v7
	v_dual_mul_f32 v17, 0x3f5db3d7, v42 :: v_dual_fmac_f32 v46, 0.5, v7
	s_delay_alu instid0(VALU_DEP_3) | instskip(NEXT) | instid1(VALU_DEP_3)
	v_dual_mul_f32 v39, 0xbf5db3d7, v41 :: v_dual_fmac_f32 v74, 0xbf5db3d7, v15
	v_dual_mul_f32 v45, -0.5, v18 :: v_dual_fmac_f32 v48, 0.5, v9
	v_fmac_f32_e32 v22, 0x3f5db3d7, v18
	s_delay_alu instid0(VALU_DEP_3) | instskip(NEXT) | instid1(VALU_DEP_3)
	v_add_f32_e32 v18, v4, v74
	v_fmac_f32_e32 v45, 0xbf5db3d7, v38
	v_fmac_f32_e32 v39, 0.5, v42
	v_fmac_f32_e32 v17, 0.5, v41
	v_add_f32_e32 v9, v1, v22
	v_sub_f32_e32 v23, v1, v22
	s_delay_alu instid0(VALU_DEP_4) | instskip(NEXT) | instid1(VALU_DEP_4)
	v_dual_sub_f32 v1, v43, v46 :: v_dual_add_f32 v8, v40, v39
	v_add_f32_e32 v7, v24, v17
	v_sub_f32_e32 v21, v24, v17
	v_sub_f32_e32 v24, v2, v45
	;; [unrolled: 1-line block ×3, first 2 shown]
	v_dual_mul_f32 v47, -0.5, v15 :: v_dual_add_f32 v10, v2, v45
	v_dual_add_f32 v15, v43, v46 :: v_dual_sub_f32 v2, v44, v48
	s_delay_alu instid0(VALU_DEP_2) | instskip(SKIP_2) | instid1(VALU_DEP_3)
	v_dual_sub_f32 v4, v4, v74 :: v_dual_fmac_f32 v47, 0x3f5db3d7, v16
	v_add_f32_e32 v16, v44, v48
	v_lshrrev_b16 v43, 12, v26
	v_add_f32_e32 v17, v3, v47
	v_sub_f32_e32 v3, v3, v47
	ds_store_b128 v112, v[5:8]
	ds_store_b128 v112, v[9:12] offset:16
	ds_store_b128 v112, v[21:24] offset:32
	ds_store_b128 v111, v[13:16]
	ds_store_b128 v111, v[17:20] offset:16
	ds_store_b128 v111, v[1:4] offset:32
	global_wb scope:SCOPE_SE
	s_wait_dscnt 0x0
	s_barrier_signal -1
	s_barrier_wait -1
	global_inv scope:SCOPE_SE
	s_clause 0x2
	global_load_b128 v[1:4], v[27:28], off
	global_load_b64 v[74:75], v[27:28], off offset:16
	global_load_b128 v[5:8], v[29:30], off
	v_add_co_u32 v13, s2, s10, v37
	s_wait_alu 0xf1ff
	v_add_co_ci_u32_e64 v14, null, s11, 0, s2
	s_clause 0x2
	global_load_b64 v[76:77], v[29:30], off offset:16
	global_load_b128 v[9:12], v[13:14], off
	global_load_b64 v[78:79], v[13:14], off offset:16
	v_mul_lo_u16 v17, v32, 24
	v_mul_lo_u16 v18, v33, 24
	v_mul_u32_u24_e32 v13, 0xaab, v98
	v_mul_u32_u24_e32 v14, 0xaab, v25
	v_mul_lo_u16 v16, v43, 24
	v_or_b32_e32 v17, v17, v35
	v_or_b32_e32 v21, v18, v36
	v_lshrrev_b32_e32 v44, 16, v13
	v_lshrrev_b32_e32 v45, 16, v14
	v_sub_nc_u16 v14, v0, v16
	v_and_b32_e32 v32, 0xffff, v17
	ds_load_2addr_stride64_b64 v[17:20], v110 offset0:24 offset1:28
	v_and_b32_e32 v15, 0xffff, v31
	v_mul_lo_u16 v16, v45, 24
	v_and_b32_e32 v46, 0xff, v14
	v_lshlrev_b32_e32 v114, 3, v32
	s_delay_alu instid0(VALU_DEP_3) | instskip(NEXT) | instid1(VALU_DEP_3)
	v_sub_nc_u16 v48, v25, v16
	v_mad_co_u64_u32 v[39:40], null, v46, 24, s[10:11]
	s_delay_alu instid0(VALU_DEP_2) | instskip(NEXT) | instid1(VALU_DEP_1)
	v_mul_lo_u16 v31, v48, 24
	v_and_b32_e32 v82, 0xffff, v31
	s_wait_loadcnt_dscnt 0x500
	v_mul_f32_e32 v84, v17, v4
	v_mul_u32_u24_e32 v13, 24, v15
	v_mul_lo_u16 v15, v44, 24
	s_wait_loadcnt 0x3
	v_mul_f32_e32 v90, v19, v8
	v_fmac_f32_e32 v84, v18, v3
	v_or_b32_e32 v13, v13, v34
	v_sub_nc_u16 v47, v98, v15
	s_delay_alu instid0(VALU_DEP_1) | instskip(NEXT) | instid1(VALU_DEP_1)
	v_mul_lo_u16 v27, v47, 24
	v_and_b32_e32 v35, 0xffff, v27
	ds_load_2addr_stride64_b64 v[27:30], v110 offset0:16 offset1:20
	v_and_b32_e32 v33, 0xffff, v21
	ds_load_2addr_stride64_b64 v[21:24], v110 offset0:32 offset1:36
	v_lshlrev_b32_e32 v115, 3, v13
	ds_load_2addr_stride64_b64 v[13:16], v110 offset0:8 offset1:12
	v_add_co_u32 v41, s2, s10, v35
	ds_load_2addr_stride64_b64 v[35:38], v110 offset1:4
	s_wait_alu 0xf1ff
	v_add_co_ci_u32_e64 v42, null, s11, 0, s2
	s_wait_dscnt 0x3
	v_dual_mul_f32 v88, v27, v6 :: v_dual_lshlrev_b32 v113, 3, v33
	s_wait_loadcnt 0x1
	v_mul_f32_e32 v94, v29, v10
	ds_load_2addr_stride64_b64 v[31:34], v110 offset0:40 offset1:44
	s_wait_dscnt 0x2
	v_mul_f32_e32 v80, v16, v2
	v_dual_mul_f32 v81, v15, v2 :: v_dual_mul_f32 v96, v21, v12
	v_mul_f32_e32 v83, v18, v4
	v_dual_mul_f32 v85, v24, v75 :: v_dual_fmac_f32 v94, v30, v9
	s_delay_alu instid0(VALU_DEP_3) | instskip(SKIP_2) | instid1(VALU_DEP_2)
	v_dual_mul_f32 v89, v20, v8 :: v_dual_fmac_f32 v96, v22, v11
	v_dual_mul_f32 v86, v23, v75 :: v_dual_mul_f32 v87, v28, v6
	v_dual_mul_f32 v93, v30, v10 :: v_dual_fmac_f32 v88, v28, v5
	v_dual_mul_f32 v95, v22, v12 :: v_dual_fmac_f32 v86, v24, v74
	v_fma_f32 v15, v15, v1, -v80
	v_fma_f32 v19, v19, v7, -v89
	v_fmac_f32_e32 v81, v16, v1
	v_fma_f32 v18, v27, v5, -v87
	v_fma_f32 v21, v21, v11, -v95
	s_wait_dscnt 0x0
	v_mul_f32_e32 v92, v31, v77
	v_sub_f32_e32 v28, v37, v19
	s_wait_loadcnt 0x0
	v_mul_f32_e32 v97, v34, v79
	v_fma_f32 v16, v17, v3, -v83
	v_mul_f32_e32 v91, v32, v77
	v_fma_f32 v17, v23, v74, -v85
	v_dual_mul_f32 v99, v33, v79 :: v_dual_fmac_f32 v92, v32, v76
	v_fma_f32 v23, v29, v9, -v93
	v_fma_f32 v22, v33, v78, -v97
	v_sub_f32_e32 v24, v35, v16
	v_sub_f32_e32 v16, v15, v17
	v_dual_fmac_f32 v90, v20, v7 :: v_dual_fmac_f32 v99, v34, v78
	v_fma_f32 v20, v31, v76, -v91
	v_sub_f32_e32 v27, v36, v84
	v_sub_f32_e32 v17, v81, v86
	v_dual_sub_f32 v31, v13, v21 :: v_dual_sub_f32 v32, v14, v96
	v_sub_f32_e32 v21, v23, v22
	v_sub_f32_e32 v19, v18, v20
	;; [unrolled: 1-line block ×5, first 2 shown]
	v_fma_f32 v33, v35, 2.0, -v24
	v_fma_f32 v34, v36, 2.0, -v27
	;; [unrolled: 1-line block ×3, first 2 shown]
	v_add_f32_e32 v16, v27, v16
	v_fma_f32 v35, v81, 2.0, -v17
	v_sub_f32_e32 v15, v24, v17
	v_fma_f32 v36, v37, 2.0, -v28
	v_fma_f32 v37, v38, 2.0, -v29
	;; [unrolled: 1-line block ×4, first 2 shown]
	v_add_f32_e32 v14, v32, v21
	v_fma_f32 v38, v18, 2.0, -v19
	v_add_f32_e32 v18, v29, v19
	v_fma_f32 v81, v13, 2.0, -v31
	v_fma_f32 v84, v23, 2.0, -v21
	;; [unrolled: 1-line block ×3, first 2 shown]
	v_sub_f32_e32 v17, v28, v20
	v_dual_sub_f32 v19, v33, v30 :: v_dual_sub_f32 v20, v34, v35
	v_sub_f32_e32 v13, v31, v22
	v_fma_f32 v21, v24, 2.0, -v15
	v_dual_sub_f32 v24, v37, v80 :: v_dual_sub_f32 v23, v36, v38
	v_fma_f32 v22, v27, 2.0, -v16
	v_sub_f32_e32 v30, v83, v85
	v_fma_f32 v27, v28, 2.0, -v17
	v_fma_f32 v28, v29, 2.0, -v18
	v_sub_f32_e32 v29, v81, v84
	v_fma_f32 v33, v33, 2.0, -v19
	v_fma_f32 v34, v34, 2.0, -v20
	v_fma_f32 v35, v36, 2.0, -v23
	v_fma_f32 v36, v37, 2.0, -v24
	v_fma_f32 v31, v31, 2.0, -v13
	v_fma_f32 v32, v32, 2.0, -v14
	v_fma_f32 v37, v81, 2.0, -v29
	v_fma_f32 v38, v83, 2.0, -v30
	global_wb scope:SCOPE_SE
	s_barrier_signal -1
	s_barrier_wait -1
	global_inv scope:SCOPE_SE
	ds_store_2addr_b64 v115, v[19:20], v[15:16] offset0:12 offset1:18
	ds_store_2addr_b64 v115, v[33:34], v[21:22] offset1:6
	ds_store_2addr_b64 v114, v[35:36], v[27:28] offset1:6
	ds_store_2addr_b64 v114, v[23:24], v[17:18] offset0:12 offset1:18
	ds_store_2addr_b64 v113, v[37:38], v[31:32] offset1:6
	ds_store_2addr_b64 v113, v[29:30], v[13:14] offset0:12 offset1:18
	global_wb scope:SCOPE_SE
	s_wait_dscnt 0x0
	s_barrier_signal -1
	s_barrier_wait -1
	global_inv scope:SCOPE_SE
	s_clause 0x2
	global_load_b128 v[13:16], v[39:40], off offset:144
	global_load_b64 v[80:81], v[39:40], off offset:160
	global_load_b128 v[21:24], v[41:42], off offset:144
	v_add_co_u32 v27, s2, s10, v82
	s_wait_alu 0xf1ff
	v_add_co_ci_u32_e64 v28, null, s11, 0, s2
	s_clause 0x2
	global_load_b64 v[84:85], v[41:42], off offset:160
	global_load_b128 v[17:20], v[27:28], off offset:144
	global_load_b64 v[82:83], v[27:28], off offset:160
	v_lshrrev_b16 v92, 14, v26
	v_mul_u32_u24_e32 v26, 0x2ab, v98
	v_mul_u32_u24_e32 v27, 0x2ab, v25
	v_and_b32_e32 v28, 0xffff, v43
	v_mul_lo_u16 v30, 0x60, v44
	v_mul_lo_u16 v29, 0x60, v92
	v_lshrrev_b32_e32 v93, 16, v26
	v_lshrrev_b32_e32 v94, 16, v27
	v_mul_u32_u24_e32 v26, 0x60, v28
	v_mul_lo_u16 v31, 0x60, v45
	v_sub_nc_u16 v27, v0, v29
	v_mul_lo_u16 v28, 0x60, v93
	v_mul_lo_u16 v29, 0x60, v94
	s_delay_alu instid0(VALU_DEP_4) | instskip(NEXT) | instid1(VALU_DEP_3)
	v_or_b32_e32 v33, v31, v48
	v_sub_nc_u16 v96, v98, v28
	s_delay_alu instid0(VALU_DEP_3) | instskip(SKIP_2) | instid1(VALU_DEP_4)
	v_sub_nc_u16 v97, v25, v29
	v_or_b32_e32 v25, v26, v46
	v_or_b32_e32 v29, v30, v47
	v_mul_lo_u16 v37, v96, 24
	s_delay_alu instid0(VALU_DEP_4) | instskip(NEXT) | instid1(VALU_DEP_4)
	v_mul_lo_u16 v41, v97, 24
	v_lshlrev_b32_e32 v118, 3, v25
	s_delay_alu instid0(VALU_DEP_4)
	v_and_b32_e32 v42, 0xffff, v29
	ds_load_2addr_stride64_b64 v[29:32], v110 offset0:24 offset1:28
	v_and_b32_e32 v95, 0xff, v27
	ds_load_2addr_stride64_b64 v[25:28], v110 offset0:8 offset1:12
	;; [unrolled: 2-line block ×4, first 2 shown]
	s_wait_loadcnt_dscnt 0x502
	v_dual_mul_f32 v91, v28, v14 :: v_dual_and_b32 v90, 0xffff, v41
	s_wait_loadcnt_dscnt 0x400
	v_dual_mul_f32 v102, v36, v81 :: v_dual_lshlrev_b32 v117, 3, v42
	s_wait_loadcnt 0x3
	v_mul_f32_e32 v104, v38, v22
	v_dual_mul_f32 v99, v27, v14 :: v_dual_lshlrev_b32 v116, 3, v43
	ds_load_2addr_stride64_b64 v[41:44], v110 offset0:40 offset1:44
	v_mul_f32_e32 v106, v32, v24
	v_add_co_u32 v88, s2, s10, v45
	ds_load_2addr_stride64_b64 v[45:48], v110 offset1:4
	v_mul_f32_e32 v100, v30, v16
	v_mul_f32_e32 v101, v29, v16
	s_wait_loadcnt 0x1
	v_dual_mul_f32 v103, v35, v81 :: v_dual_mul_f32 v122, v33, v20
	v_mul_f32_e32 v120, v39, v18
	v_mul_f32_e32 v107, v31, v24
	;; [unrolled: 1-line block ×3, first 2 shown]
	s_delay_alu instid0(VALU_DEP_4)
	v_dual_mul_f32 v119, v40, v18 :: v_dual_fmac_f32 v122, v34, v19
	v_fma_f32 v27, v27, v13, -v91
	v_fma_f32 v31, v31, v23, -v106
	v_fmac_f32_e32 v99, v28, v13
	v_fma_f32 v28, v29, v15, -v100
	v_fma_f32 v29, v35, v80, -v102
	v_fmac_f32_e32 v120, v40, v17
	s_wait_dscnt 0x1
	v_mul_f32_e32 v108, v42, v85
	v_mul_f32_e32 v109, v41, v85
	s_wait_loadcnt 0x0
	v_mul_f32_e32 v123, v44, v83
	v_dual_mul_f32 v124, v43, v83 :: v_dual_mul_f32 v121, v34, v20
	v_fmac_f32_e32 v101, v30, v15
	v_fma_f32 v30, v37, v21, -v104
	v_fmac_f32_e32 v107, v32, v23
	v_fma_f32 v32, v41, v84, -v108
	v_fma_f32 v35, v39, v17, -v119
	v_dual_fmac_f32 v124, v44, v82 :: v_dual_fmac_f32 v105, v38, v21
	v_fma_f32 v33, v33, v19, -v121
	s_wait_dscnt 0x0
	v_dual_sub_f32 v38, v47, v31 :: v_dual_sub_f32 v31, v30, v32
	v_fmac_f32_e32 v109, v42, v84
	v_fmac_f32_e32 v103, v36, v80
	v_sub_f32_e32 v36, v45, v28
	v_fma_f32 v34, v43, v82, -v123
	v_sub_f32_e32 v42, v26, v122
	v_sub_f32_e32 v28, v27, v29
	;; [unrolled: 1-line block ×3, first 2 shown]
	v_fma_f32 v43, v45, 2.0, -v36
	v_mad_co_u64_u32 v[86:87], null, v95, 24, s[10:11]
	v_fma_f32 v100, v26, 2.0, -v42
	v_sub_f32_e32 v41, v25, v33
	v_sub_f32_e32 v33, v35, v34
	;; [unrolled: 1-line block ×4, first 2 shown]
	v_fma_f32 v44, v46, 2.0, -v37
	v_fma_f32 v46, v47, 2.0, -v38
	v_add_f32_e32 v26, v42, v33
	v_fma_f32 v47, v48, 2.0, -v39
	v_fma_f32 v48, v30, 2.0, -v31
	v_add_f32_e32 v30, v39, v31
	v_dual_sub_f32 v32, v105, v109 :: v_dual_sub_f32 v29, v99, v103
	v_fma_f32 v40, v27, 2.0, -v28
	v_fma_f32 v102, v120, 2.0, -v34
	;; [unrolled: 1-line block ×3, first 2 shown]
	s_delay_alu instid0(VALU_DEP_4) | instskip(SKIP_1) | instid1(VALU_DEP_4)
	v_fma_f32 v91, v105, 2.0, -v32
	v_sub_f32_e32 v27, v36, v29
	v_dual_sub_f32 v31, v43, v40 :: v_dual_sub_f32 v40, v100, v102
	v_sub_f32_e32 v35, v46, v48
	v_fma_f32 v42, v42, 2.0, -v26
	s_delay_alu instid0(VALU_DEP_4)
	v_fma_f32 v33, v36, 2.0, -v27
	v_sub_f32_e32 v36, v47, v91
	v_add_f32_e32 v28, v37, v28
	v_fma_f32 v45, v99, 2.0, -v29
	v_sub_f32_e32 v29, v38, v32
	v_fma_f32 v99, v25, 2.0, -v41
	v_sub_f32_e32 v25, v41, v34
	;; [unrolled: 2-line block ×3, first 2 shown]
	v_fma_f32 v37, v38, 2.0, -v29
	v_fma_f32 v38, v39, 2.0, -v30
	v_sub_f32_e32 v39, v99, v101
	v_fma_f32 v43, v43, 2.0, -v31
	v_fma_f32 v44, v44, 2.0, -v32
	;; [unrolled: 1-line block ×7, first 2 shown]
	s_wait_alu 0xf1ff
	v_add_co_ci_u32_e64 v89, null, s11, 0, s2
	global_wb scope:SCOPE_SE
	s_barrier_signal -1
	s_barrier_wait -1
	global_inv scope:SCOPE_SE
	ds_store_2addr_b64 v118, v[31:32], v[27:28] offset0:48 offset1:72
	ds_store_2addr_b64 v118, v[43:44], v[33:34] offset1:24
	ds_store_2addr_b64 v117, v[45:46], v[37:38] offset1:24
	ds_store_2addr_b64 v117, v[35:36], v[29:30] offset0:48 offset1:72
	ds_store_2addr_b64 v116, v[47:48], v[41:42] offset1:24
	ds_store_2addr_b64 v116, v[39:40], v[25:26] offset0:48 offset1:72
	v_add_co_u32 v37, s2, s10, v90
	s_wait_alu 0xf1ff
	v_add_co_ci_u32_e64 v38, null, s11, 0, s2
	global_wb scope:SCOPE_SE
	s_wait_dscnt 0x0
	s_barrier_signal -1
	s_barrier_wait -1
	global_inv scope:SCOPE_SE
	s_clause 0x5
	global_load_b128 v[33:36], v[86:87], off offset:720
	global_load_b128 v[29:32], v[88:89], off offset:720
	;; [unrolled: 1-line block ×3, first 2 shown]
	global_load_b64 v[90:91], v[86:87], off offset:736
	global_load_b64 v[88:89], v[88:89], off offset:736
	;; [unrolled: 1-line block ×3, first 2 shown]
	v_mov_b32_e32 v99, 0
	v_add_nc_u32_e32 v37, 0xffffff80, v0
	v_mul_lo_u16 v38, 0x180, v93
	v_mul_lo_u16 v39, 0x180, v94
	v_mad_co_u64_u32 v[108:109], null, v0, 24, s[10:11]
	v_cmp_gt_u64_e32 vcc_lo, 0x180, v[98:99]
	s_delay_alu instid0(VALU_DEP_4) | instskip(NEXT) | instid1(VALU_DEP_4)
	v_or_b32_e32 v38, v38, v96
	v_or_b32_e32 v39, v39, v97
	s_add_nc_u64 s[2:3], s[8:9], 0x6000
	s_wait_alu 0xfffd
	v_cndmask_b32_e32 v127, v37, v98, vcc_lo
	v_and_b32_e32 v37, 0xffff, v92
	v_and_b32_e32 v46, 0xffff, v38
	;; [unrolled: 1-line block ×3, first 2 shown]
	s_delay_alu instid0(VALU_DEP_3) | instskip(NEXT) | instid1(VALU_DEP_3)
	v_mul_u32_u24_e32 v37, 0x180, v37
	v_lshlrev_b32_e32 v121, 3, v46
	s_delay_alu instid0(VALU_DEP_3) | instskip(NEXT) | instid1(VALU_DEP_3)
	v_lshlrev_b32_e32 v119, 3, v47
	v_or_b32_e32 v45, v37, v95
	ds_load_2addr_stride64_b64 v[37:40], v110 offset0:8 offset1:12
	ds_load_2addr_stride64_b64 v[41:44], v110 offset0:24 offset1:28
	v_lshlrev_b32_e32 v122, 3, v45
	ds_load_2addr_stride64_b64 v[45:48], v110 offset0:16 offset1:20
	ds_load_2addr_stride64_b64 v[92:95], v110 offset0:32 offset1:36
	v_add_nc_u32_e32 v124, 0x400, v122
	s_wait_loadcnt_dscnt 0x402
	v_mul_f32_e32 v130, v43, v32
	s_wait_dscnt 0x1
	v_mul_f32_e32 v132, v45, v30
	s_wait_loadcnt_dscnt 0x200
	v_mul_f32_e32 v136, v94, v91
	v_mul_i32_i24_e32 v101, 24, v127
	v_mul_hi_i32_i24_e32 v100, 24, v127
	v_dual_mul_f32 v97, v42, v36 :: v_dual_fmac_f32 v130, v44, v31
	v_mul_f32_e32 v128, v41, v36
	s_delay_alu instid0(VALU_DEP_4)
	v_add_co_u32 v125, vcc_lo, s10, v101
	s_wait_alu 0xfffd
	v_add_co_ci_u32_e32 v126, vcc_lo, s11, v100, vcc_lo
	ds_load_2addr_stride64_b64 v[100:103], v110 offset0:40 offset1:44
	ds_load_2addr_stride64_b64 v[104:107], v110 offset1:4
	v_dual_mul_f32 v129, v44, v32 :: v_dual_fmac_f32 v136, v95, v90
	v_mul_f32_e32 v134, v47, v26
	v_mul_f32_e32 v131, v46, v30
	;; [unrolled: 1-line block ×3, first 2 shown]
	v_fma_f32 v41, v41, v35, -v97
	v_mul_f32_e32 v135, v95, v91
	v_dual_fmac_f32 v128, v42, v35 :: v_dual_mul_f32 v139, v39, v34
	v_mul_f32_e32 v96, v40, v34
	v_mul_f32_e32 v138, v92, v28
	;; [unrolled: 1-line block ×3, first 2 shown]
	v_fma_f32 v42, v43, v31, -v129
	v_fmac_f32_e32 v132, v46, v29
	v_fmac_f32_e32 v134, v48, v25
	;; [unrolled: 1-line block ×3, first 2 shown]
	v_fma_f32 v43, v45, v29, -v131
	v_fma_f32 v44, v47, v25, -v133
	s_wait_loadcnt_dscnt 0x101
	v_mul_f32_e32 v140, v101, v89
	s_wait_loadcnt 0x0
	v_dual_mul_f32 v142, v103, v87 :: v_dual_add_nc_u32 v123, 0x400, v121
	s_wait_dscnt 0x0
	v_sub_f32_e32 v48, v104, v41
	v_fma_f32 v45, v94, v90, -v135
	v_sub_f32_e32 v94, v107, v130
	v_fma_f32 v46, v92, v27, -v137
	v_dual_sub_f32 v92, v105, v128 :: v_dual_fmac_f32 v139, v40, v33
	v_fma_f32 v40, v100, v88, -v140
	v_mul_f32_e32 v141, v100, v89
	v_mul_f32_e32 v143, v102, v87
	v_fma_f32 v39, v39, v33, -v96
	v_sub_f32_e32 v96, v37, v46
	v_fma_f32 v47, v102, v86, -v142
	v_dual_sub_f32 v93, v106, v42 :: v_dual_sub_f32 v42, v43, v40
	v_fmac_f32_e32 v141, v101, v88
	s_delay_alu instid0(VALU_DEP_4) | instskip(NEXT) | instid1(VALU_DEP_4)
	v_fma_f32 v128, v37, 2.0, -v96
	v_dual_sub_f32 v46, v44, v47 :: v_dual_sub_f32 v97, v38, v138
	v_sub_f32_e32 v41, v39, v45
	v_fma_f32 v100, v104, 2.0, -v48
	v_fma_f32 v101, v105, 2.0, -v92
	;; [unrolled: 1-line block ×4, first 2 shown]
	v_dual_add_f32 v42, v94, v42 :: v_dual_sub_f32 v45, v139, v136
	v_fma_f32 v129, v38, 2.0, -v97
	v_add_f32_e32 v38, v97, v46
	v_dual_fmac_f32 v143, v103, v86 :: v_dual_add_f32 v40, v92, v41
	v_sub_f32_e32 v95, v132, v141
	v_fma_f32 v103, v139, 2.0, -v45
	v_fma_f32 v102, v39, 2.0, -v41
	s_delay_alu instid0(VALU_DEP_4)
	v_sub_f32_e32 v47, v134, v143
	v_fma_f32 v105, v107, 2.0, -v94
	v_fma_f32 v107, v132, 2.0, -v95
	v_sub_f32_e32 v41, v93, v95
	v_fma_f32 v95, v44, 2.0, -v46
	v_dual_sub_f32 v44, v101, v103 :: v_dual_sub_f32 v39, v48, v45
	v_fma_f32 v130, v134, 2.0, -v47
	v_sub_f32_e32 v43, v100, v102
	v_sub_f32_e32 v37, v96, v47
	v_sub_f32_e32 v47, v104, v106
	v_fma_f32 v45, v48, 2.0, -v39
	v_sub_f32_e32 v48, v105, v107
	v_fma_f32 v46, v92, 2.0, -v40
	v_fma_f32 v92, v93, 2.0, -v41
	;; [unrolled: 1-line block ×3, first 2 shown]
	v_dual_sub_f32 v94, v128, v95 :: v_dual_sub_f32 v95, v129, v130
	v_fma_f32 v100, v100, 2.0, -v43
	v_fma_f32 v101, v101, 2.0, -v44
	;; [unrolled: 1-line block ×8, first 2 shown]
	v_add_nc_u32_e32 v120, 0x400, v119
	global_wb scope:SCOPE_SE
	s_barrier_signal -1
	s_barrier_wait -1
	global_inv scope:SCOPE_SE
	ds_store_2addr_b64 v124, v[43:44], v[39:40] offset0:64 offset1:160
	ds_store_2addr_b64 v122, v[100:101], v[45:46] offset1:96
	ds_store_2addr_b64 v121, v[102:103], v[92:93] offset1:96
	ds_store_2addr_b64 v123, v[47:48], v[41:42] offset0:64 offset1:160
	ds_store_2addr_b64 v119, v[104:105], v[96:97] offset1:96
	ds_store_2addr_b64 v120, v[94:95], v[37:38] offset0:64 offset1:160
	global_wb scope:SCOPE_SE
	s_wait_dscnt 0x0
	s_barrier_signal -1
	s_barrier_wait -1
	global_inv scope:SCOPE_SE
	s_clause 0x5
	global_load_b128 v[41:44], v[108:109], off offset:3024
	global_load_b128 v[37:40], v[125:126], off offset:3024
	;; [unrolled: 1-line block ×3, first 2 shown]
	global_load_b64 v[96:97], v[108:109], off offset:3040
	global_load_b64 v[94:95], v[125:126], off offset:3040
	;; [unrolled: 1-line block ×3, first 2 shown]
	v_cmp_lt_u64_e32 vcc_lo, 0x17f, v[98:99]
	ds_load_2addr_stride64_b64 v[100:103], v110 offset0:24 offset1:28
	ds_load_2addr_stride64_b64 v[104:107], v110 offset0:16 offset1:20
	s_wait_alu 0xfffd
	v_cndmask_b32_e64 v98, 0, 0x600, vcc_lo
	s_delay_alu instid0(VALU_DEP_1)
	v_or_b32_e32 v98, v98, v127
	ds_load_2addr_stride64_b64 v[126:129], v110 offset0:32 offset1:36
	ds_load_2addr_stride64_b64 v[130:133], v110 offset0:40 offset1:44
	;; [unrolled: 1-line block ×3, first 2 shown]
	ds_load_2addr_stride64_b64 v[138:141], v110 offset1:4
	global_wb scope:SCOPE_SE
	s_wait_loadcnt_dscnt 0x0
	s_barrier_signal -1
	v_lshlrev_b32_e32 v125, 3, v98
	s_barrier_wait -1
	global_inv scope:SCOPE_SE
	v_dual_mul_f32 v99, v100, v44 :: v_dual_mul_f32 v154, v137, v42
	v_mul_f32_e32 v142, v105, v38
	v_dual_mul_f32 v148, v127, v48 :: v_dual_mul_f32 v143, v104, v38
	v_mul_f32_e32 v150, v131, v95
	v_mul_f32_e32 v98, v101, v44
	v_fmac_f32_e32 v99, v101, v43
	v_fma_f32 v101, v104, v37, -v142
	v_fma_f32 v104, v126, v47, -v148
	v_mul_f32_e32 v108, v103, v40
	v_mul_f32_e32 v144, v107, v46
	;; [unrolled: 1-line block ×3, first 2 shown]
	v_fmac_f32_e32 v143, v105, v37
	v_fma_f32 v105, v130, v94, -v150
	v_mul_f32_e32 v109, v102, v40
	v_mul_f32_e32 v151, v130, v95
	v_fma_f32 v98, v100, v43, -v98
	v_dual_mul_f32 v147, v128, v97 :: v_dual_sub_f32 v130, v134, v104
	v_mul_f32_e32 v155, v136, v42
	v_fma_f32 v100, v102, v39, -v108
	v_mul_f32_e32 v145, v106, v46
	v_fma_f32 v102, v106, v45, -v144
	v_fma_f32 v106, v136, v41, -v154
	v_dual_sub_f32 v104, v101, v105 :: v_dual_fmac_f32 v109, v103, v39
	v_fma_f32 v103, v128, v96, -v146
	v_fmac_f32_e32 v155, v137, v41
	v_fmac_f32_e32 v151, v131, v94
	v_mul_f32_e32 v149, v126, v48
	v_dual_sub_f32 v126, v138, v98 :: v_dual_fmac_f32 v147, v129, v96
	v_dual_mul_f32 v152, v133, v93 :: v_dual_sub_f32 v103, v106, v103
	v_dual_sub_f32 v128, v140, v100 :: v_dual_fmac_f32 v145, v107, v45
	s_delay_alu instid0(VALU_DEP_3) | instskip(NEXT) | instid1(VALU_DEP_3)
	v_dual_sub_f32 v108, v155, v147 :: v_dual_mul_f32 v153, v132, v93
	v_fma_f32 v107, v132, v92, -v152
	v_sub_f32_e32 v129, v141, v109
	v_fma_f32 v106, v106, 2.0, -v103
	v_fma_f32 v132, v138, 2.0, -v126
	v_sub_f32_e32 v100, v143, v151
	v_dual_fmac_f32 v149, v127, v47 :: v_dual_sub_f32 v98, v126, v108
	v_fmac_f32_e32 v153, v133, v92
	v_fma_f32 v109, v155, 2.0, -v108
	v_fma_f32 v108, v101, 2.0, -v104
	v_dual_add_f32 v101, v129, v104 :: v_dual_sub_f32 v104, v132, v106
	v_sub_f32_e32 v127, v139, v99
	v_sub_f32_e32 v131, v135, v149
	;; [unrolled: 1-line block ×4, first 2 shown]
	v_fma_f32 v136, v140, 2.0, -v128
	v_fma_f32 v133, v139, 2.0, -v127
	v_fma_f32 v137, v141, 2.0, -v129
	v_fma_f32 v138, v134, 2.0, -v130
	v_fma_f32 v134, v143, 2.0, -v100
	v_add_f32_e32 v99, v127, v103
	v_fma_f32 v139, v135, 2.0, -v131
	v_sub_f32_e32 v100, v128, v100
	v_fma_f32 v135, v102, 2.0, -v105
	v_fma_f32 v140, v145, 2.0, -v107
	v_add_f32_e32 v103, v131, v105
	v_dual_sub_f32 v105, v133, v109 :: v_dual_sub_f32 v108, v136, v108
	v_dual_sub_f32 v109, v137, v134 :: v_dual_sub_f32 v102, v130, v107
	v_fma_f32 v106, v126, 2.0, -v98
	v_fma_f32 v107, v127, 2.0, -v99
	;; [unrolled: 1-line block ×4, first 2 shown]
	v_dual_sub_f32 v128, v138, v135 :: v_dual_sub_f32 v129, v139, v140
	v_fma_f32 v132, v132, 2.0, -v104
	v_fma_f32 v133, v133, 2.0, -v105
	;; [unrolled: 1-line block ×8, first 2 shown]
	ds_store_2addr_stride64_b64 v110, v[104:105], v[98:99] offset0:12 offset1:18
	ds_store_2addr_stride64_b64 v110, v[132:133], v[106:107] offset1:6
	ds_store_2addr_stride64_b64 v125, v[134:135], v[126:127] offset1:6
	ds_store_2addr_stride64_b64 v125, v[108:109], v[100:101] offset0:12 offset1:18
	ds_store_2addr_stride64_b64 v110, v[136:137], v[130:131] offset0:26 offset1:32
	;; [unrolled: 1-line block ×3, first 2 shown]
	global_wb scope:SCOPE_SE
	s_wait_dscnt 0x0
	s_barrier_signal -1
	s_barrier_wait -1
	global_inv scope:SCOPE_SE
	s_clause 0x5
	global_load_b64 v[98:99], v110, s[10:11] offset:12240
	global_load_b64 v[100:101], v110, s[10:11] offset:14288
	;; [unrolled: 1-line block ×6, first 2 shown]
	ds_load_2addr_stride64_b64 v[126:129], v110 offset0:24 offset1:28
	ds_load_2addr_stride64_b64 v[130:133], v110 offset0:32 offset1:36
	;; [unrolled: 1-line block ×3, first 2 shown]
	ds_load_2addr_stride64_b64 v[138:141], v110 offset1:4
	ds_load_2addr_stride64_b64 v[142:145], v110 offset0:8 offset1:12
	ds_load_2addr_stride64_b64 v[146:149], v110 offset0:16 offset1:20
	s_wait_loadcnt_dscnt 0x505
	v_mul_f32_e32 v150, v127, v99
	s_wait_loadcnt 0x4
	v_dual_mul_f32 v151, v126, v99 :: v_dual_mul_f32 v152, v129, v101
	s_wait_loadcnt_dscnt 0x304
	v_dual_mul_f32 v153, v128, v101 :: v_dual_mul_f32 v154, v131, v103
	s_wait_loadcnt 0x2
	v_dual_mul_f32 v155, v130, v103 :: v_dual_mul_f32 v156, v133, v105
	s_wait_loadcnt_dscnt 0x103
	v_dual_mul_f32 v157, v132, v105 :: v_dual_mul_f32 v158, v135, v107
	s_wait_loadcnt 0x0
	v_dual_mul_f32 v159, v134, v107 :: v_dual_mul_f32 v160, v137, v109
	v_mul_f32_e32 v161, v136, v109
	v_fma_f32 v126, v126, v98, -v150
	v_fmac_f32_e32 v151, v127, v98
	v_fma_f32 v128, v128, v100, -v152
	v_fmac_f32_e32 v153, v129, v100
	;; [unrolled: 2-line block ×5, first 2 shown]
	v_fma_f32 v136, v136, v108, -v160
	s_wait_dscnt 0x2
	v_dual_fmac_f32 v161, v137, v108 :: v_dual_sub_f32 v126, v138, v126
	v_dual_sub_f32 v127, v139, v151 :: v_dual_sub_f32 v128, v140, v128
	s_wait_dscnt 0x1
	v_dual_sub_f32 v129, v141, v153 :: v_dual_sub_f32 v130, v142, v130
	v_dual_sub_f32 v131, v143, v155 :: v_dual_sub_f32 v132, v144, v132
	s_wait_dscnt 0x0
	v_dual_sub_f32 v133, v145, v157 :: v_dual_sub_f32 v134, v146, v134
	v_dual_sub_f32 v135, v147, v159 :: v_dual_sub_f32 v136, v148, v136
	v_sub_f32_e32 v137, v149, v161
	v_fma_f32 v138, v138, 2.0, -v126
	v_fma_f32 v139, v139, 2.0, -v127
	;; [unrolled: 1-line block ×12, first 2 shown]
	ds_store_2addr_stride64_b64 v110, v[126:127], v[128:129] offset0:24 offset1:28
	ds_store_2addr_stride64_b64 v110, v[130:131], v[132:133] offset0:32 offset1:36
	;; [unrolled: 1-line block ×3, first 2 shown]
	ds_store_2addr_stride64_b64 v110, v[138:139], v[140:141] offset1:4
	ds_store_2addr_stride64_b64 v110, v[142:143], v[144:145] offset0:8 offset1:12
	ds_store_2addr_stride64_b64 v110, v[146:147], v[148:149] offset0:16 offset1:20
	global_wb scope:SCOPE_SE
	s_wait_dscnt 0x0
	s_barrier_signal -1
	s_barrier_wait -1
	global_inv scope:SCOPE_SE
	s_clause 0xb
	global_load_b64 v[134:135], v110, s[8:9] offset:24576
	global_load_b64 v[136:137], v110, s[2:3] offset:2048
	global_load_b64 v[138:139], v110, s[2:3] offset:4096
	global_load_b64 v[140:141], v110, s[2:3] offset:6144
	global_load_b64 v[142:143], v110, s[2:3] offset:8192
	global_load_b64 v[144:145], v110, s[2:3] offset:10240
	global_load_b64 v[146:147], v110, s[2:3] offset:12288
	global_load_b64 v[148:149], v110, s[2:3] offset:14336
	global_load_b64 v[150:151], v110, s[2:3] offset:16384
	global_load_b64 v[152:153], v110, s[2:3] offset:18432
	global_load_b64 v[154:155], v110, s[2:3] offset:20480
	global_load_b64 v[156:157], v110, s[2:3] offset:22528
	ds_load_2addr_stride64_b64 v[126:129], v110 offset1:4
	ds_load_2addr_stride64_b64 v[130:133], v110 offset0:8 offset1:12
	s_mov_b32 s2, 0x55555555
	s_mov_b32 s3, 0x3f355555
	s_wait_loadcnt_dscnt 0x900
	v_dual_mul_f32 v160, v129, v137 :: v_dual_mul_f32 v161, v131, v139
	v_mul_f32_e32 v158, v127, v135
	v_mul_f32_e32 v159, v126, v135
	;; [unrolled: 1-line block ×4, first 2 shown]
	s_wait_loadcnt 0x8
	v_mul_f32_e32 v139, v132, v141
	v_fma_f32 v158, v126, v134, -v158
	v_fmac_f32_e32 v159, v127, v134
	v_fma_f32 v134, v128, v136, -v160
	v_fmac_f32_e32 v135, v129, v136
	ds_load_2addr_stride64_b64 v[126:129], v110 offset0:16 offset1:20
	v_mul_f32_e32 v160, v133, v141
	v_fma_f32 v136, v130, v138, -v161
	v_fmac_f32_e32 v137, v131, v138
	v_fmac_f32_e32 v139, v133, v140
	s_delay_alu instid0(VALU_DEP_4)
	v_fma_f32 v138, v132, v140, -v160
	ds_load_2addr_stride64_b64 v[130:133], v110 offset0:24 offset1:28
	s_wait_loadcnt_dscnt 0x701
	v_mul_f32_e32 v140, v127, v143
	s_wait_loadcnt 0x6
	v_dual_mul_f32 v141, v126, v143 :: v_dual_mul_f32 v160, v129, v145
	v_mul_f32_e32 v143, v128, v145
	s_delay_alu instid0(VALU_DEP_3) | instskip(NEXT) | instid1(VALU_DEP_3)
	v_fma_f32 v140, v126, v142, -v140
	v_fmac_f32_e32 v141, v127, v142
	s_wait_loadcnt_dscnt 0x500
	v_mul_f32_e32 v161, v131, v147
	v_fma_f32 v142, v128, v144, -v160
	v_fmac_f32_e32 v143, v129, v144
	ds_load_2addr_stride64_b64 v[126:129], v110 offset0:32 offset1:36
	s_wait_loadcnt 0x4
	v_dual_mul_f32 v145, v130, v147 :: v_dual_mul_f32 v160, v133, v149
	v_mul_f32_e32 v147, v132, v149
	v_fma_f32 v144, v130, v146, -v161
	s_delay_alu instid0(VALU_DEP_3) | instskip(NEXT) | instid1(VALU_DEP_4)
	v_fmac_f32_e32 v145, v131, v146
	v_fma_f32 v146, v132, v148, -v160
	s_delay_alu instid0(VALU_DEP_4)
	v_fmac_f32_e32 v147, v133, v148
	ds_load_2addr_stride64_b64 v[130:133], v110 offset0:40 offset1:44
	s_wait_loadcnt_dscnt 0x301
	v_mul_f32_e32 v148, v127, v151
	s_wait_loadcnt 0x2
	v_dual_mul_f32 v149, v126, v151 :: v_dual_mul_f32 v160, v129, v153
	v_mul_f32_e32 v151, v128, v153
	s_delay_alu instid0(VALU_DEP_3) | instskip(NEXT) | instid1(VALU_DEP_3)
	v_fma_f32 v148, v126, v150, -v148
	v_fmac_f32_e32 v149, v127, v150
	s_delay_alu instid0(VALU_DEP_4)
	v_fma_f32 v150, v128, v152, -v160
	s_wait_loadcnt_dscnt 0x100
	v_dual_fmac_f32 v151, v129, v152 :: v_dual_mul_f32 v126, v131, v155
	s_wait_loadcnt 0x0
	v_dual_mul_f32 v127, v130, v155 :: v_dual_mul_f32 v128, v133, v157
	v_mul_f32_e32 v129, v132, v157
	s_delay_alu instid0(VALU_DEP_3) | instskip(NEXT) | instid1(VALU_DEP_3)
	v_fma_f32 v126, v130, v154, -v126
	v_fmac_f32_e32 v127, v131, v154
	s_delay_alu instid0(VALU_DEP_4) | instskip(NEXT) | instid1(VALU_DEP_4)
	v_fma_f32 v128, v132, v156, -v128
	v_fmac_f32_e32 v129, v133, v156
	ds_store_2addr_stride64_b64 v110, v[158:159], v[134:135] offset1:4
	ds_store_2addr_stride64_b64 v110, v[136:137], v[138:139] offset0:8 offset1:12
	ds_store_2addr_stride64_b64 v110, v[140:141], v[142:143] offset0:16 offset1:20
	;; [unrolled: 1-line block ×5, first 2 shown]
	global_wb scope:SCOPE_SE
	s_wait_dscnt 0x0
	s_barrier_signal -1
	s_barrier_wait -1
	global_inv scope:SCOPE_SE
	ds_load_2addr_stride64_b64 v[126:129], v110 offset0:24 offset1:28
	ds_load_2addr_stride64_b64 v[130:133], v110 offset0:40 offset1:44
	ds_load_2addr_stride64_b64 v[134:137], v110 offset1:4
	ds_load_2addr_stride64_b64 v[138:141], v110 offset0:16 offset1:20
	ds_load_2addr_stride64_b64 v[142:145], v110 offset0:32 offset1:36
	;; [unrolled: 1-line block ×3, first 2 shown]
	global_wb scope:SCOPE_SE
	s_wait_dscnt 0x0
	s_barrier_signal -1
	s_barrier_wait -1
	global_inv scope:SCOPE_SE
	v_add_f32_e32 v150, v126, v130
	v_sub_f32_e32 v160, v126, v130
	v_add_f32_e32 v152, v134, v138
	v_dual_add_f32 v154, v138, v142 :: v_dual_add_f32 v153, v135, v139
	v_add_f32_e32 v155, v139, v143
	v_dual_sub_f32 v156, v139, v143 :: v_dual_add_f32 v139, v137, v141
	v_sub_f32_e32 v159, v141, v145
	v_add_f32_e32 v141, v141, v145
	v_fma_f32 v134, -0.5, v154, v134
	v_dual_sub_f32 v157, v138, v142 :: v_dual_add_f32 v138, v136, v140
	v_add_f32_e32 v143, v153, v143
	v_add_f32_e32 v153, v129, v133
	v_fmac_f32_e32 v137, -0.5, v141
	v_fmamk_f32 v141, v156, 0xbf5db3d7, v134
	v_dual_add_f32 v151, v127, v131 :: v_dual_add_f32 v158, v140, v144
	v_dual_sub_f32 v140, v140, v144 :: v_dual_sub_f32 v161, v127, v131
	v_add_f32_e32 v126, v146, v126
	v_add_f32_e32 v142, v152, v142
	v_dual_add_f32 v144, v138, v144 :: v_dual_add_f32 v145, v139, v145
	v_dual_add_f32 v127, v147, v127 :: v_dual_add_f32 v138, v148, v128
	;; [unrolled: 1-line block ×3, first 2 shown]
	v_sub_f32_e32 v128, v128, v132
	v_fma_f32 v147, -0.5, v151, v147
	v_fmac_f32_e32 v149, -0.5, v153
	v_sub_f32_e32 v129, v129, v133
	v_fma_f32 v146, -0.5, v150, v146
	v_dual_add_f32 v130, v126, v130 :: v_dual_add_f32 v131, v127, v131
	v_dual_add_f32 v150, v138, v132 :: v_dual_add_f32 v151, v152, v133
	v_fma_f32 v148, -0.5, v139, v148
	v_fmamk_f32 v152, v128, 0x3f5db3d7, v149
	v_fmac_f32_e32 v149, 0xbf5db3d7, v128
	v_fmamk_f32 v128, v160, 0x3f5db3d7, v147
	v_dual_add_f32 v126, v142, v130 :: v_dual_add_f32 v127, v143, v131
	v_dual_sub_f32 v132, v142, v130 :: v_dual_sub_f32 v133, v143, v131
	v_add_f32_e32 v138, v144, v150
	v_sub_f32_e32 v144, v144, v150
	v_fma_f32 v135, -0.5, v155, v135
	v_fma_f32 v136, -0.5, v158, v136
	v_dual_fmac_f32 v147, 0xbf5db3d7, v160 :: v_dual_fmamk_f32 v130, v161, 0xbf5db3d7, v146
	v_fmamk_f32 v131, v129, 0xbf5db3d7, v148
	v_fmamk_f32 v150, v140, 0x3f5db3d7, v137
	v_fmac_f32_e32 v137, 0xbf5db3d7, v140
	v_mul_f32_e32 v140, 0xbf5db3d7, v128
	v_mul_f32_e32 v155, 0xbf5db3d7, v152
	;; [unrolled: 1-line block ×3, first 2 shown]
	v_dual_mul_f32 v162, -0.5, v149 :: v_dual_add_f32 v139, v145, v151
	v_dual_sub_f32 v145, v145, v151 :: v_dual_fmac_f32 v146, 0x3f5db3d7, v161
	v_fmamk_f32 v151, v159, 0xbf5db3d7, v136
	v_dual_mul_f32 v143, 0.5, v128 :: v_dual_fmac_f32 v140, 0.5, v130
	v_mul_f32_e32 v149, 0xbf5db3d7, v147
	v_mul_f32_e32 v154, -0.5, v147
	v_dual_fmac_f32 v155, 0.5, v131 :: v_dual_mul_f32 v152, 0.5, v152
	s_delay_alu instid0(VALU_DEP_4) | instskip(NEXT) | instid1(VALU_DEP_4)
	v_dual_fmac_f32 v148, 0x3f5db3d7, v129 :: v_dual_fmac_f32 v143, 0x3f5db3d7, v130
	v_fmac_f32_e32 v149, -0.5, v146
	s_delay_alu instid0(VALU_DEP_4)
	v_fmac_f32_e32 v154, 0x3f5db3d7, v146
	v_add_f32_e32 v128, v141, v140
	v_sub_f32_e32 v146, v141, v140
	v_add_f32_e32 v140, v151, v155
	v_fmamk_f32 v142, v157, 0x3f5db3d7, v135
	v_fmac_f32_e32 v134, 0x3f5db3d7, v156
	v_fmac_f32_e32 v135, 0xbf5db3d7, v157
	;; [unrolled: 1-line block ×5, first 2 shown]
	v_fmac_f32_e32 v153, -0.5, v148
	v_add_f32_e32 v129, v142, v143
	v_dual_add_f32 v130, v134, v149 :: v_dual_add_f32 v131, v135, v154
	v_sub_f32_e32 v148, v134, v149
	v_sub_f32_e32 v147, v142, v143
	;; [unrolled: 1-line block ×3, first 2 shown]
	v_add_f32_e32 v141, v150, v152
	v_dual_add_f32 v143, v137, v162 :: v_dual_add_f32 v142, v136, v153
	v_dual_sub_f32 v137, v137, v162 :: v_dual_sub_f32 v134, v151, v155
	v_dual_sub_f32 v136, v136, v153 :: v_dual_sub_f32 v135, v150, v152
	ds_store_b128 v112, v[126:129]
	ds_store_b128 v112, v[130:133] offset:16
	ds_store_b128 v112, v[146:149] offset:32
	ds_store_b128 v111, v[138:141]
	ds_store_b128 v111, v[142:145] offset:16
	ds_store_b128 v111, v[134:137] offset:32
	global_wb scope:SCOPE_SE
	s_wait_dscnt 0x0
	s_barrier_signal -1
	s_barrier_wait -1
	global_inv scope:SCOPE_SE
	ds_load_2addr_stride64_b64 v[126:129], v110 offset0:24 offset1:28
	ds_load_2addr_stride64_b64 v[130:133], v110 offset0:16 offset1:20
	;; [unrolled: 1-line block ×5, first 2 shown]
	ds_load_2addr_stride64_b64 v[146:149], v110 offset1:4
	global_wb scope:SCOPE_SE
	s_wait_dscnt 0x0
	s_barrier_signal -1
	s_barrier_wait -1
	global_inv scope:SCOPE_SE
	v_mul_f32_e32 v111, v4, v127
	v_mul_f32_e32 v4, v4, v126
	;; [unrolled: 1-line block ×7, first 2 shown]
	v_dual_mul_f32 v10, v10, v132 :: v_dual_mul_f32 v153, v75, v137
	v_mul_f32_e32 v75, v75, v136
	v_fmac_f32_e32 v111, v3, v126
	v_fma_f32 v3, v3, v127, -v4
	v_fma_f32 v4, v7, v129, -v8
	v_mul_f32_e32 v8, v2, v145
	v_mul_f32_e32 v2, v2, v144
	;; [unrolled: 1-line block ×7, first 2 shown]
	v_fmac_f32_e32 v112, v7, v128
	v_dual_mul_f32 v7, v79, v140 :: v_dual_fmac_f32 v150, v5, v130
	v_fma_f32 v5, v5, v131, -v6
	v_fma_f32 v6, v9, v133, -v10
	v_fmac_f32_e32 v153, v74, v136
	v_fma_f32 v10, v74, v137, -v75
	v_fmac_f32_e32 v8, v1, v144
	v_fma_f32 v1, v1, v145, -v2
	v_dual_fmac_f32 v151, v9, v132 :: v_dual_fmac_f32 v152, v11, v134
	v_fma_f32 v9, v11, v135, -v12
	v_fmac_f32_e32 v154, v76, v138
	v_fma_f32 v11, v76, v139, -v77
	v_fmac_f32_e32 v155, v78, v140
	v_fma_f32 v7, v78, v141, -v7
	v_sub_f32_e32 v12, v146, v111
	v_sub_f32_e32 v74, v147, v3
	v_dual_sub_f32 v2, v8, v153 :: v_dual_sub_f32 v3, v1, v10
	v_sub_f32_e32 v75, v148, v112
	v_dual_sub_f32 v76, v149, v4 :: v_dual_sub_f32 v79, v143, v9
	v_dual_sub_f32 v4, v150, v154 :: v_dual_sub_f32 v9, v5, v11
	v_sub_f32_e32 v78, v142, v152
	v_sub_f32_e32 v10, v151, v155
	;; [unrolled: 1-line block ×3, first 2 shown]
	v_fma_f32 v111, v146, 2.0, -v12
	v_fma_f32 v112, v147, 2.0, -v74
	;; [unrolled: 1-line block ×6, first 2 shown]
	v_add_f32_e32 v1, v12, v3
	v_fma_f32 v77, v150, 2.0, -v4
	v_fma_f32 v130, v5, 2.0, -v9
	v_fma_f32 v128, v142, 2.0, -v78
	v_fma_f32 v129, v143, 2.0, -v79
	v_dual_sub_f32 v2, v74, v2 :: v_dual_add_f32 v3, v75, v9
	v_sub_f32_e32 v4, v76, v4
	v_fma_f32 v131, v151, 2.0, -v10
	v_fma_f32 v132, v6, 2.0, -v7
	v_add_f32_e32 v5, v78, v7
	v_dual_sub_f32 v7, v111, v8 :: v_dual_sub_f32 v8, v112, v11
	v_fma_f32 v9, v12, 2.0, -v1
	v_dual_sub_f32 v11, v126, v77 :: v_dual_sub_f32 v12, v127, v130
	v_sub_f32_e32 v6, v79, v10
	v_fma_f32 v10, v74, 2.0, -v2
	v_fma_f32 v74, v75, 2.0, -v3
	;; [unrolled: 1-line block ×3, first 2 shown]
	v_dual_sub_f32 v76, v128, v131 :: v_dual_sub_f32 v77, v129, v132
	v_fma_f32 v111, v111, 2.0, -v7
	v_fma_f32 v112, v112, 2.0, -v8
	;; [unrolled: 1-line block ×8, first 2 shown]
	ds_store_2addr_b64 v115, v[7:8], v[1:2] offset0:12 offset1:18
	ds_store_2addr_b64 v115, v[111:112], v[9:10] offset1:6
	ds_store_2addr_b64 v114, v[126:127], v[74:75] offset1:6
	ds_store_2addr_b64 v114, v[11:12], v[3:4] offset0:12 offset1:18
	ds_store_2addr_b64 v113, v[128:129], v[78:79] offset1:6
	ds_store_2addr_b64 v113, v[76:77], v[5:6] offset0:12 offset1:18
	global_wb scope:SCOPE_SE
	s_wait_dscnt 0x0
	s_barrier_signal -1
	s_barrier_wait -1
	global_inv scope:SCOPE_SE
	ds_load_2addr_stride64_b64 v[1:4], v110 offset0:8 offset1:12
	ds_load_2addr_stride64_b64 v[5:8], v110 offset0:24 offset1:28
	;; [unrolled: 1-line block ×5, first 2 shown]
	ds_load_2addr_stride64_b64 v[126:129], v110 offset1:4
	global_wb scope:SCOPE_SE
	s_wait_dscnt 0x0
	s_barrier_signal -1
	s_barrier_wait -1
	global_inv scope:SCOPE_SE
	v_mul_f32_e32 v78, v14, v4
	v_dual_mul_f32 v14, v14, v3 :: v_dual_mul_f32 v79, v16, v6
	v_mul_f32_e32 v16, v16, v5
	v_mul_f32_e32 v115, v24, v8
	;; [unrolled: 1-line block ×12, first 2 shown]
	v_dual_mul_f32 v20, v20, v9 :: v_dual_mul_f32 v135, v83, v114
	v_dual_mul_f32 v83, v83, v113 :: v_dual_fmac_f32 v78, v13, v3
	v_fma_f32 v3, v13, v4, -v14
	v_fmac_f32_e32 v79, v15, v5
	v_fma_f32 v4, v15, v6, -v16
	v_fmac_f32_e32 v115, v23, v7
	v_fmac_f32_e32 v130, v80, v11
	v_fma_f32 v7, v80, v12, -v81
	v_fma_f32 v5, v23, v8, -v24
	v_fmac_f32_e32 v131, v21, v74
	v_fma_f32 v6, v21, v75, -v22
	v_fmac_f32_e32 v132, v84, v111
	;; [unrolled: 2-line block ×5, first 2 shown]
	v_fma_f32 v10, v82, v114, -v83
	v_dual_sub_f32 v12, v126, v79 :: v_dual_sub_f32 v13, v127, v4
	v_dual_sub_f32 v4, v78, v130 :: v_dual_sub_f32 v7, v3, v7
	;; [unrolled: 1-line block ×3, first 2 shown]
	v_sub_f32_e32 v16, v131, v132
	v_sub_f32_e32 v5, v6, v8
	v_dual_sub_f32 v17, v1, v134 :: v_dual_sub_f32 v18, v2, v9
	v_dual_sub_f32 v8, v133, v135 :: v_dual_sub_f32 v9, v11, v10
	v_fma_f32 v19, v126, 2.0, -v12
	v_fma_f32 v20, v127, 2.0, -v13
	;; [unrolled: 1-line block ×4, first 2 shown]
	v_add_f32_e32 v3, v12, v7
	v_fma_f32 v22, v128, 2.0, -v14
	v_fma_f32 v23, v129, 2.0, -v15
	;; [unrolled: 1-line block ×4, first 2 shown]
	v_dual_sub_f32 v4, v13, v4 :: v_dual_add_f32 v5, v14, v5
	v_sub_f32_e32 v6, v15, v16
	v_fma_f32 v75, v1, 2.0, -v17
	v_fma_f32 v76, v2, 2.0, -v18
	;; [unrolled: 1-line block ×4, first 2 shown]
	v_dual_sub_f32 v2, v18, v8 :: v_dual_sub_f32 v7, v19, v10
	v_sub_f32_e32 v8, v20, v21
	v_add_f32_e32 v1, v17, v9
	v_fma_f32 v9, v12, 2.0, -v3
	v_dual_sub_f32 v11, v22, v24 :: v_dual_sub_f32 v12, v23, v74
	v_fma_f32 v10, v13, 2.0, -v4
	v_fma_f32 v13, v14, 2.0, -v5
	;; [unrolled: 1-line block ×3, first 2 shown]
	v_dual_sub_f32 v15, v75, v16 :: v_dual_sub_f32 v16, v76, v77
	v_fma_f32 v19, v19, 2.0, -v7
	v_fma_f32 v20, v20, 2.0, -v8
	;; [unrolled: 1-line block ×8, first 2 shown]
	ds_store_2addr_b64 v118, v[7:8], v[3:4] offset0:48 offset1:72
	ds_store_2addr_b64 v118, v[19:20], v[9:10] offset1:24
	ds_store_2addr_b64 v117, v[21:22], v[13:14] offset1:24
	ds_store_2addr_b64 v117, v[11:12], v[5:6] offset0:48 offset1:72
	ds_store_2addr_b64 v116, v[23:24], v[17:18] offset1:24
	ds_store_2addr_b64 v116, v[15:16], v[1:2] offset0:48 offset1:72
	global_wb scope:SCOPE_SE
	s_wait_dscnt 0x0
	s_barrier_signal -1
	s_barrier_wait -1
	global_inv scope:SCOPE_SE
	ds_load_2addr_stride64_b64 v[1:4], v110 offset0:8 offset1:12
	ds_load_2addr_stride64_b64 v[5:8], v110 offset0:24 offset1:28
	;; [unrolled: 1-line block ×5, first 2 shown]
	ds_load_2addr_stride64_b64 v[21:24], v110 offset1:4
	global_wb scope:SCOPE_SE
	s_wait_dscnt 0x0
	s_barrier_signal -1
	s_barrier_wait -1
	global_inv scope:SCOPE_SE
	v_mul_f32_e32 v74, v34, v4
	v_mul_f32_e32 v79, v32, v8
	v_mul_f32_e32 v83, v28, v10
	v_mul_f32_e32 v28, v28, v9
	v_dual_mul_f32 v32, v32, v7 :: v_dual_mul_f32 v81, v89, v17
	s_delay_alu instid0(VALU_DEP_3) | instskip(NEXT) | instid1(VALU_DEP_3)
	v_dual_mul_f32 v80, v89, v18 :: v_dual_fmac_f32 v83, v27, v9
	v_fma_f32 v9, v27, v10, -v28
	v_fmac_f32_e32 v79, v31, v7
	s_delay_alu instid0(VALU_DEP_4)
	v_fma_f32 v7, v31, v8, -v32
	v_fma_f32 v8, v88, v18, -v81
	v_mul_f32_e32 v34, v34, v3
	v_sub_f32_e32 v18, v2, v9
	v_mul_f32_e32 v76, v91, v12
	v_dual_mul_f32 v77, v91, v11 :: v_dual_mul_f32 v78, v30, v14
	v_mul_f32_e32 v30, v30, v13
	s_delay_alu instid0(VALU_DEP_4)
	v_fma_f32 v27, v2, 2.0, -v18
	v_mul_f32_e32 v75, v36, v6
	v_mul_f32_e32 v36, v36, v5
	;; [unrolled: 1-line block ×6, first 2 shown]
	v_fmac_f32_e32 v74, v33, v3
	v_fma_f32 v3, v33, v4, -v34
	v_fmac_f32_e32 v75, v35, v5
	v_fma_f32 v4, v35, v6, -v36
	;; [unrolled: 2-line block ×4, first 2 shown]
	v_fmac_f32_e32 v80, v88, v17
	v_fmac_f32_e32 v82, v25, v15
	v_fma_f32 v11, v25, v16, -v26
	v_fmac_f32_e32 v84, v86, v19
	v_fma_f32 v10, v86, v20, -v85
	v_dual_sub_f32 v12, v21, v75 :: v_dual_sub_f32 v13, v22, v4
	v_dual_sub_f32 v4, v74, v76 :: v_dual_sub_f32 v5, v3, v5
	v_sub_f32_e32 v14, v23, v79
	v_sub_f32_e32 v15, v24, v7
	;; [unrolled: 1-line block ×3, first 2 shown]
	v_dual_sub_f32 v8, v6, v8 :: v_dual_sub_f32 v17, v1, v83
	v_dual_sub_f32 v9, v82, v84 :: v_dual_sub_f32 v10, v11, v10
	v_fma_f32 v19, v21, 2.0, -v12
	v_fma_f32 v20, v22, 2.0, -v13
	;; [unrolled: 1-line block ×4, first 2 shown]
	v_add_f32_e32 v3, v12, v5
	v_fma_f32 v22, v23, 2.0, -v14
	v_fma_f32 v23, v24, 2.0, -v15
	;; [unrolled: 1-line block ×4, first 2 shown]
	v_sub_f32_e32 v4, v13, v4
	v_dual_add_f32 v5, v14, v8 :: v_dual_sub_f32 v6, v15, v7
	v_fma_f32 v26, v1, 2.0, -v17
	v_fma_f32 v28, v82, 2.0, -v9
	;; [unrolled: 1-line block ×3, first 2 shown]
	v_dual_sub_f32 v7, v19, v16 :: v_dual_sub_f32 v8, v20, v21
	v_sub_f32_e32 v2, v18, v9
	v_fma_f32 v9, v12, 2.0, -v3
	v_dual_sub_f32 v11, v22, v24 :: v_dual_sub_f32 v12, v23, v25
	v_add_f32_e32 v1, v17, v10
	v_fma_f32 v10, v13, 2.0, -v4
	v_fma_f32 v13, v14, 2.0, -v5
	;; [unrolled: 1-line block ×3, first 2 shown]
	v_dual_sub_f32 v15, v26, v28 :: v_dual_sub_f32 v16, v27, v29
	v_fma_f32 v19, v19, 2.0, -v7
	v_fma_f32 v20, v20, 2.0, -v8
	;; [unrolled: 1-line block ×8, first 2 shown]
	ds_store_2addr_b64 v124, v[7:8], v[3:4] offset0:64 offset1:160
	ds_store_2addr_b64 v122, v[19:20], v[9:10] offset1:96
	ds_store_2addr_b64 v121, v[21:22], v[13:14] offset1:96
	ds_store_2addr_b64 v123, v[11:12], v[5:6] offset0:64 offset1:160
	ds_store_2addr_b64 v119, v[23:24], v[17:18] offset1:96
	ds_store_2addr_b64 v120, v[15:16], v[1:2] offset0:64 offset1:160
	global_wb scope:SCOPE_SE
	s_wait_dscnt 0x0
	s_barrier_signal -1
	s_barrier_wait -1
	global_inv scope:SCOPE_SE
	ds_load_2addr_stride64_b64 v[1:4], v110 offset0:8 offset1:12
	ds_load_2addr_stride64_b64 v[5:8], v110 offset0:24 offset1:28
	;; [unrolled: 1-line block ×5, first 2 shown]
	ds_load_2addr_stride64_b64 v[21:24], v110 offset1:4
	global_wb scope:SCOPE_SE
	s_wait_dscnt 0x0
	s_barrier_signal -1
	s_barrier_wait -1
	global_inv scope:SCOPE_SE
	v_mad_co_u64_u32 v[25:26], null, s6, v73, 0
	v_mul_f32_e32 v27, v42, v4
	v_mul_f32_e32 v28, v42, v3
	v_dual_mul_f32 v30, v44, v5 :: v_dual_mul_f32 v31, v97, v12
	v_mul_f32_e32 v33, v38, v14
	s_delay_alu instid0(VALU_DEP_4) | instskip(NEXT) | instid1(VALU_DEP_4)
	v_fmac_f32_e32 v27, v41, v3
	v_fma_f32 v3, v41, v4, -v28
	s_delay_alu instid0(VALU_DEP_4) | instskip(SKIP_3) | instid1(VALU_DEP_3)
	v_fma_f32 v4, v43, v6, -v30
	v_dual_fmac_f32 v31, v96, v11 :: v_dual_mul_f32 v34, v38, v13
	v_dual_mul_f32 v42, v46, v16 :: v_dual_mul_f32 v75, v93, v19
	v_fmac_f32_e32 v33, v37, v13
	v_dual_sub_f32 v13, v22, v4 :: v_dual_sub_f32 v4, v27, v31
	v_dual_mul_f32 v29, v44, v6 :: v_dual_mul_f32 v44, v46, v15
	v_mul_f32_e32 v46, v48, v10
	v_mul_f32_e32 v48, v48, v9
	;; [unrolled: 1-line block ×4, first 2 shown]
	v_fma_f32 v11, v45, v16, -v44
	v_fmac_f32_e32 v46, v47, v9
	v_fma_f32 v9, v47, v10, -v48
	v_fma_f32 v10, v92, v20, -v75
	v_mul_f32_e32 v38, v95, v18
	v_mul_f32_e32 v74, v93, v20
	v_fma_f32 v16, v27, 2.0, -v4
	v_sub_f32_e32 v4, v13, v4
	v_sub_f32_e32 v10, v11, v10
	v_fmac_f32_e32 v29, v43, v5
	v_fma_f32 v5, v96, v12, -v32
	v_fma_f32 v6, v37, v14, -v34
	v_fmac_f32_e32 v38, v94, v17
	v_fma_f32 v31, v11, 2.0, -v10
	v_dual_mul_f32 v35, v40, v8 :: v_dual_mul_f32 v40, v95, v17
	v_fmac_f32_e32 v42, v45, v15
	v_fmac_f32_e32 v74, v92, v19
	s_delay_alu instid0(VALU_DEP_3) | instskip(SKIP_3) | instid1(VALU_DEP_4)
	v_dual_sub_f32 v12, v21, v29 :: v_dual_fmac_f32 v35, v39, v7
	v_fma_f32 v7, v39, v8, -v36
	v_fma_f32 v8, v94, v18, -v40
	v_sub_f32_e32 v5, v3, v5
	v_dual_sub_f32 v17, v1, v46 :: v_dual_sub_f32 v14, v23, v35
	s_delay_alu instid0(VALU_DEP_4) | instskip(NEXT) | instid1(VALU_DEP_4)
	v_sub_f32_e32 v15, v24, v7
	v_dual_sub_f32 v7, v33, v38 :: v_dual_sub_f32 v8, v6, v8
	v_sub_f32_e32 v18, v2, v9
	v_sub_f32_e32 v9, v42, v74
	v_fma_f32 v19, v21, 2.0, -v12
	v_fma_f32 v20, v22, 2.0, -v13
	;; [unrolled: 1-line block ×3, first 2 shown]
	v_add_f32_e32 v3, v12, v5
	v_fma_f32 v22, v23, 2.0, -v14
	v_fma_f32 v23, v24, 2.0, -v15
	;; [unrolled: 1-line block ×4, first 2 shown]
	v_dual_add_f32 v5, v14, v8 :: v_dual_sub_f32 v6, v15, v7
	v_fma_f32 v28, v1, 2.0, -v17
	v_fma_f32 v29, v2, 2.0, -v18
	;; [unrolled: 1-line block ×3, first 2 shown]
	v_dual_sub_f32 v7, v19, v16 :: v_dual_sub_f32 v8, v20, v21
	v_sub_f32_e32 v2, v18, v9
	v_fma_f32 v9, v12, 2.0, -v3
	v_dual_sub_f32 v11, v22, v24 :: v_dual_sub_f32 v12, v23, v27
	v_add_f32_e32 v1, v17, v10
	v_fma_f32 v10, v13, 2.0, -v4
	v_fma_f32 v13, v14, 2.0, -v5
	;; [unrolled: 1-line block ×3, first 2 shown]
	v_dual_sub_f32 v15, v28, v30 :: v_dual_sub_f32 v16, v29, v31
	v_fma_f32 v19, v19, 2.0, -v7
	v_fma_f32 v20, v20, 2.0, -v8
	v_fma_f32 v21, v22, 2.0, -v11
	v_fma_f32 v22, v23, 2.0, -v12
	v_fma_f32 v17, v17, 2.0, -v1
	v_fma_f32 v18, v18, 2.0, -v2
	v_fma_f32 v23, v28, 2.0, -v15
	v_fma_f32 v24, v29, 2.0, -v16
	ds_store_2addr_stride64_b64 v110, v[7:8], v[3:4] offset0:12 offset1:18
	ds_store_2addr_stride64_b64 v110, v[19:20], v[9:10] offset1:6
	ds_store_2addr_stride64_b64 v125, v[21:22], v[13:14] offset1:6
	ds_store_2addr_stride64_b64 v125, v[11:12], v[5:6] offset0:12 offset1:18
	ds_store_2addr_stride64_b64 v110, v[23:24], v[17:18] offset0:26 offset1:32
	;; [unrolled: 1-line block ×3, first 2 shown]
	global_wb scope:SCOPE_SE
	s_wait_dscnt 0x0
	s_barrier_signal -1
	s_barrier_wait -1
	global_inv scope:SCOPE_SE
	ds_load_2addr_stride64_b64 v[5:8], v110 offset0:32 offset1:36
	v_mad_co_u64_u32 v[27:28], null, s4, v0, 0
	ds_load_2addr_stride64_b64 v[1:4], v110 offset0:24 offset1:28
	s_wait_dscnt 0x1
	v_mul_f32_e32 v34, v105, v8
	v_dual_mul_f32 v35, v105, v7 :: v_dual_mul_f32 v32, v103, v6
	s_wait_dscnt 0x0
	v_dual_mul_f32 v30, v101, v4 :: v_dual_mul_f32 v33, v103, v5
	s_delay_alu instid0(VALU_DEP_3) | instskip(NEXT) | instid1(VALU_DEP_3)
	v_dual_fmac_f32 v34, v104, v7 :: v_dual_mov_b32 v9, v26
	v_fma_f32 v7, v104, v8, -v35
	s_delay_alu instid0(VALU_DEP_3)
	v_fmac_f32_e32 v30, v100, v3
	v_fmac_f32_e32 v32, v102, v5
	v_fma_f32 v5, v102, v6, -v33
	v_mad_co_u64_u32 v[13:14], null, s7, v73, v[9:10]
	ds_load_2addr_stride64_b64 v[9:12], v110 offset0:40 offset1:44
	v_mov_b32_e32 v14, v28
	s_delay_alu instid0(VALU_DEP_1)
	v_mad_co_u64_u32 v[28:29], null, s5, v0, v[14:15]
	v_mov_b32_e32 v26, v13
	ds_load_2addr_stride64_b64 v[13:16], v110 offset1:4
	ds_load_2addr_stride64_b64 v[17:20], v110 offset0:8 offset1:12
	ds_load_2addr_stride64_b64 v[21:24], v110 offset0:16 offset1:20
	v_mul_f32_e32 v0, v99, v2
	s_delay_alu instid0(VALU_DEP_1) | instskip(SKIP_3) | instid1(VALU_DEP_2)
	v_fmac_f32_e32 v0, v98, v1
	s_wait_dscnt 0x3
	v_mul_f32_e32 v36, v107, v10
	v_dual_mul_f32 v38, v109, v12 :: v_dual_mul_f32 v37, v107, v9
	v_dual_mul_f32 v39, v109, v11 :: v_dual_fmac_f32 v36, v106, v9
	s_delay_alu instid0(VALU_DEP_2) | instskip(SKIP_1) | instid1(VALU_DEP_4)
	v_dual_mul_f32 v29, v99, v1 :: v_dual_fmac_f32 v38, v108, v11
	v_mul_f32_e32 v31, v101, v3
	v_fma_f32 v9, v106, v10, -v37
	s_wait_dscnt 0x0
	v_sub_f32_e32 v8, v21, v36
	v_fma_f32 v1, v98, v2, -v29
	v_sub_f32_e32 v10, v23, v38
	v_fma_f32 v3, v100, v4, -v31
	v_fma_f32 v11, v108, v12, -v39
	s_delay_alu instid0(VALU_DEP_4) | instskip(NEXT) | instid1(VALU_DEP_3)
	v_dual_sub_f32 v0, v13, v0 :: v_dual_sub_f32 v1, v14, v1
	v_dual_sub_f32 v2, v15, v30 :: v_dual_sub_f32 v3, v16, v3
	;; [unrolled: 1-line block ×4, first 2 shown]
	v_sub_f32_e32 v9, v22, v9
	v_sub_f32_e32 v11, v24, v11
	v_fma_f32 v12, v13, 2.0, -v0
	v_fma_f32 v13, v14, 2.0, -v1
	;; [unrolled: 1-line block ×12, first 2 shown]
	ds_store_2addr_stride64_b64 v110, v[0:1], v[2:3] offset0:24 offset1:28
	ds_store_2addr_stride64_b64 v110, v[4:5], v[6:7] offset0:32 offset1:36
	;; [unrolled: 1-line block ×3, first 2 shown]
	ds_store_2addr_stride64_b64 v110, v[12:13], v[14:15] offset1:4
	ds_store_2addr_stride64_b64 v110, v[16:17], v[18:19] offset0:8 offset1:12
	ds_store_2addr_stride64_b64 v110, v[20:21], v[22:23] offset0:16 offset1:20
	global_wb scope:SCOPE_SE
	s_wait_dscnt 0x0
	s_barrier_signal -1
	s_barrier_wait -1
	global_inv scope:SCOPE_SE
	ds_load_2addr_stride64_b64 v[0:3], v110 offset1:4
	ds_load_2addr_stride64_b64 v[4:7], v110 offset0:8 offset1:12
	ds_load_2addr_stride64_b64 v[8:11], v110 offset0:16 offset1:20
	;; [unrolled: 1-line block ×5, first 2 shown]
	v_lshlrev_b64_e32 v[24:25], 3, v[25:26]
	v_lshlrev_b64_e32 v[26:27], 3, v[27:28]
	s_delay_alu instid0(VALU_DEP_2) | instskip(SKIP_1) | instid1(VALU_DEP_3)
	v_add_co_u32 v24, vcc_lo, s0, v24
	s_wait_alu 0xfffd
	v_add_co_ci_u32_e32 v25, vcc_lo, s1, v25, vcc_lo
	s_lshl_b64 s[0:1], s[4:5], 12
	s_delay_alu instid0(VALU_DEP_2) | instskip(SKIP_1) | instid1(VALU_DEP_2)
	v_add_co_u32 v24, vcc_lo, v24, v26
	s_wait_alu 0xfffd
	v_add_co_ci_u32_e32 v25, vcc_lo, v25, v27, vcc_lo
	s_wait_dscnt 0x5
	v_mul_f32_e32 v26, v50, v1
	s_wait_dscnt 0x2
	v_dual_mul_f32 v27, v50, v0 :: v_dual_mul_f32 v32, v68, v13
	v_mul_f32_e32 v30, v52, v9
	s_wait_dscnt 0x0
	v_dual_mul_f32 v50, v70, v22 :: v_dual_mul_f32 v31, v52, v8
	v_mul_f32_e32 v42, v66, v11
	v_fmac_f32_e32 v26, v49, v0
	v_fma_f32 v27, v49, v1, -v27
	s_delay_alu instid0(VALU_DEP_4)
	v_fma_f32 v49, v69, v23, -v50
	s_wait_alu 0xfffe
	v_add_co_u32 v50, vcc_lo, v24, s0
	v_mul_f32_e32 v34, v54, v17
	v_dual_mul_f32 v38, v60, v3 :: v_dual_mul_f32 v35, v54, v16
	v_dual_mul_f32 v39, v60, v2 :: v_dual_fmac_f32 v30, v51, v8
	v_fma_f32 v31, v51, v9, -v31
	s_wait_alu 0xfffd
	v_add_co_ci_u32_e32 v51, vcc_lo, s1, v25, vcc_lo
	v_add_co_u32 v52, vcc_lo, v50, s0
	v_dual_mul_f32 v29, v62, v4 :: v_dual_mul_f32 v36, v56, v21
	v_dual_mul_f32 v40, v58, v7 :: v_dual_mul_f32 v37, v56, v20
	v_dual_mul_f32 v43, v66, v10 :: v_dual_fmac_f32 v34, v53, v16
	v_fmac_f32_e32 v38, v59, v2
	v_fma_f32 v35, v53, v17, -v35
	s_wait_alu 0xfffd
	v_add_co_ci_u32_e32 v53, vcc_lo, s1, v51, vcc_lo
	v_add_co_u32 v54, vcc_lo, v52, s0
	v_dual_mul_f32 v41, v58, v6 :: v_dual_fmac_f32 v32, v67, v12
	v_dual_mul_f32 v45, v64, v14 :: v_dual_fmac_f32 v36, v55, v20
	v_fmac_f32_e32 v40, v57, v6
	v_fma_f32 v37, v55, v21, -v37
	s_wait_alu 0xfffd
	v_add_co_ci_u32_e32 v55, vcc_lo, s1, v53, vcc_lo
	v_add_co_u32 v56, vcc_lo, v54, s0
	v_mul_f32_e32 v28, v62, v5
	v_fma_f32 v41, v57, v7, -v41
	s_wait_alu 0xfffd
	v_add_co_ci_u32_e32 v57, vcc_lo, s1, v55, vcc_lo
	v_dual_mul_f32 v33, v68, v12 :: v_dual_mul_f32 v48, v70, v23
	v_add_co_u32 v58, vcc_lo, v56, s0
	v_fmac_f32_e32 v28, v61, v4
	v_fma_f32 v29, v61, v5, -v29
	v_fma_f32 v39, v59, v3, -v39
	s_wait_alu 0xfffd
	v_add_co_ci_u32_e32 v59, vcc_lo, s1, v57, vcc_lo
	v_mul_f32_e32 v44, v64, v15
	v_fma_f32 v33, v67, v13, -v33
	v_mul_f32_e32 v46, v72, v19
	v_mul_f32_e32 v47, v72, v18
	v_cvt_f64_f32_e32 v[0:1], v26
	v_cvt_f64_f32_e32 v[2:3], v27
	;; [unrolled: 1-line block ×4, first 2 shown]
	v_fma_f32 v43, v65, v11, -v43
	v_cvt_f64_f32_e32 v[8:9], v30
	v_mad_co_u64_u32 v[60:61], null, 0xffffb800, s4, v[58:59]
	v_fmac_f32_e32 v42, v65, v10
	v_cvt_f64_f32_e32 v[10:11], v31
	v_fmac_f32_e32 v44, v63, v14
	v_fma_f32 v45, v63, v15, -v45
	v_cvt_f64_f32_e32 v[12:13], v32
	v_cvt_f64_f32_e32 v[14:15], v33
	v_fmac_f32_e32 v46, v71, v18
	v_fma_f32 v47, v71, v19, -v47
	v_cvt_f64_f32_e32 v[16:17], v34
	v_cvt_f64_f32_e32 v[18:19], v35
	v_fmac_f32_e32 v48, v69, v22
	v_cvt_f64_f32_e32 v[20:21], v36
	v_cvt_f64_f32_e32 v[22:23], v37
	v_cvt_f64_f32_e32 v[26:27], v38
	v_cvt_f64_f32_e32 v[28:29], v39
	v_cvt_f64_f32_e32 v[30:31], v40
	v_cvt_f64_f32_e32 v[32:33], v41
	v_cvt_f64_f32_e32 v[34:35], v42
	v_cvt_f64_f32_e32 v[36:37], v43
	v_cvt_f64_f32_e32 v[38:39], v44
	v_cvt_f64_f32_e32 v[40:41], v45
	v_cvt_f64_f32_e32 v[42:43], v46
	v_cvt_f64_f32_e32 v[44:45], v47
	v_cvt_f64_f32_e32 v[46:47], v48
	v_cvt_f64_f32_e32 v[48:49], v49
	v_mul_f64_e32 v[0:1], s[2:3], v[0:1]
	v_mul_f64_e32 v[2:3], s[2:3], v[2:3]
	;; [unrolled: 1-line block ×24, first 2 shown]
	s_mul_i32 s2, s5, 0xffffb800
	s_wait_alu 0xfffe
	s_sub_co_i32 s2, s2, s4
	s_wait_alu 0xfffe
	v_add_nc_u32_e32 v61, s2, v61
	v_cvt_f32_f64_e32 v0, v[0:1]
	v_cvt_f32_f64_e32 v1, v[2:3]
	;; [unrolled: 1-line block ×24, first 2 shown]
	v_add_co_u32 v26, vcc_lo, v60, s0
	s_wait_alu 0xfffd
	v_add_co_ci_u32_e32 v27, vcc_lo, s1, v61, vcc_lo
	s_delay_alu instid0(VALU_DEP_2) | instskip(SKIP_1) | instid1(VALU_DEP_2)
	v_add_co_u32 v28, vcc_lo, v26, s0
	s_wait_alu 0xfffd
	v_add_co_ci_u32_e32 v29, vcc_lo, s1, v27, vcc_lo
	s_delay_alu instid0(VALU_DEP_2) | instskip(SKIP_1) | instid1(VALU_DEP_2)
	;; [unrolled: 4-line block ×4, first 2 shown]
	v_add_co_u32 v34, vcc_lo, v32, s0
	s_wait_alu 0xfffd
	v_add_co_ci_u32_e32 v35, vcc_lo, s1, v33, vcc_lo
	s_clause 0x4
	global_store_b64 v[24:25], v[0:1], off
	global_store_b64 v[50:51], v[2:3], off
	;; [unrolled: 1-line block ×12, first 2 shown]
.LBB0_2:
	s_nop 0
	s_sendmsg sendmsg(MSG_DEALLOC_VGPRS)
	s_endpgm
	.section	.rodata,"a",@progbits
	.p2align	6, 0x0
	.amdhsa_kernel bluestein_single_back_len3072_dim1_sp_op_CI_CI
		.amdhsa_group_segment_fixed_size 24576
		.amdhsa_private_segment_fixed_size 0
		.amdhsa_kernarg_size 104
		.amdhsa_user_sgpr_count 2
		.amdhsa_user_sgpr_dispatch_ptr 0
		.amdhsa_user_sgpr_queue_ptr 0
		.amdhsa_user_sgpr_kernarg_segment_ptr 1
		.amdhsa_user_sgpr_dispatch_id 0
		.amdhsa_user_sgpr_private_segment_size 0
		.amdhsa_wavefront_size32 1
		.amdhsa_uses_dynamic_stack 0
		.amdhsa_enable_private_segment 0
		.amdhsa_system_sgpr_workgroup_id_x 1
		.amdhsa_system_sgpr_workgroup_id_y 0
		.amdhsa_system_sgpr_workgroup_id_z 0
		.amdhsa_system_sgpr_workgroup_info 0
		.amdhsa_system_vgpr_workitem_id 0
		.amdhsa_next_free_vgpr 163
		.amdhsa_next_free_sgpr 20
		.amdhsa_reserve_vcc 1
		.amdhsa_float_round_mode_32 0
		.amdhsa_float_round_mode_16_64 0
		.amdhsa_float_denorm_mode_32 3
		.amdhsa_float_denorm_mode_16_64 3
		.amdhsa_fp16_overflow 0
		.amdhsa_workgroup_processor_mode 1
		.amdhsa_memory_ordered 1
		.amdhsa_forward_progress 0
		.amdhsa_round_robin_scheduling 0
		.amdhsa_exception_fp_ieee_invalid_op 0
		.amdhsa_exception_fp_denorm_src 0
		.amdhsa_exception_fp_ieee_div_zero 0
		.amdhsa_exception_fp_ieee_overflow 0
		.amdhsa_exception_fp_ieee_underflow 0
		.amdhsa_exception_fp_ieee_inexact 0
		.amdhsa_exception_int_div_zero 0
	.end_amdhsa_kernel
	.text
.Lfunc_end0:
	.size	bluestein_single_back_len3072_dim1_sp_op_CI_CI, .Lfunc_end0-bluestein_single_back_len3072_dim1_sp_op_CI_CI
                                        ; -- End function
	.section	.AMDGPU.csdata,"",@progbits
; Kernel info:
; codeLenInByte = 11576
; NumSgprs: 22
; NumVgprs: 163
; ScratchSize: 0
; MemoryBound: 0
; FloatMode: 240
; IeeeMode: 1
; LDSByteSize: 24576 bytes/workgroup (compile time only)
; SGPRBlocks: 2
; VGPRBlocks: 20
; NumSGPRsForWavesPerEU: 22
; NumVGPRsForWavesPerEU: 163
; Occupancy: 9
; WaveLimiterHint : 1
; COMPUTE_PGM_RSRC2:SCRATCH_EN: 0
; COMPUTE_PGM_RSRC2:USER_SGPR: 2
; COMPUTE_PGM_RSRC2:TRAP_HANDLER: 0
; COMPUTE_PGM_RSRC2:TGID_X_EN: 1
; COMPUTE_PGM_RSRC2:TGID_Y_EN: 0
; COMPUTE_PGM_RSRC2:TGID_Z_EN: 0
; COMPUTE_PGM_RSRC2:TIDIG_COMP_CNT: 0
	.text
	.p2alignl 7, 3214868480
	.fill 96, 4, 3214868480
	.type	__hip_cuid_2adce646f84d3141,@object ; @__hip_cuid_2adce646f84d3141
	.section	.bss,"aw",@nobits
	.globl	__hip_cuid_2adce646f84d3141
__hip_cuid_2adce646f84d3141:
	.byte	0                               ; 0x0
	.size	__hip_cuid_2adce646f84d3141, 1

	.ident	"AMD clang version 19.0.0git (https://github.com/RadeonOpenCompute/llvm-project roc-6.4.0 25133 c7fe45cf4b819c5991fe208aaa96edf142730f1d)"
	.section	".note.GNU-stack","",@progbits
	.addrsig
	.addrsig_sym __hip_cuid_2adce646f84d3141
	.amdgpu_metadata
---
amdhsa.kernels:
  - .args:
      - .actual_access:  read_only
        .address_space:  global
        .offset:         0
        .size:           8
        .value_kind:     global_buffer
      - .actual_access:  read_only
        .address_space:  global
        .offset:         8
        .size:           8
        .value_kind:     global_buffer
      - .actual_access:  read_only
        .address_space:  global
        .offset:         16
        .size:           8
        .value_kind:     global_buffer
      - .actual_access:  read_only
        .address_space:  global
        .offset:         24
        .size:           8
        .value_kind:     global_buffer
      - .actual_access:  read_only
        .address_space:  global
        .offset:         32
        .size:           8
        .value_kind:     global_buffer
      - .offset:         40
        .size:           8
        .value_kind:     by_value
      - .address_space:  global
        .offset:         48
        .size:           8
        .value_kind:     global_buffer
      - .address_space:  global
        .offset:         56
        .size:           8
        .value_kind:     global_buffer
      - .address_space:  global
        .offset:         64
        .size:           8
        .value_kind:     global_buffer
      - .address_space:  global
        .offset:         72
        .size:           8
        .value_kind:     global_buffer
      - .offset:         80
        .size:           4
        .value_kind:     by_value
      - .address_space:  global
        .offset:         88
        .size:           8
        .value_kind:     global_buffer
      - .address_space:  global
        .offset:         96
        .size:           8
        .value_kind:     global_buffer
    .group_segment_fixed_size: 24576
    .kernarg_segment_align: 8
    .kernarg_segment_size: 104
    .language:       OpenCL C
    .language_version:
      - 2
      - 0
    .max_flat_workgroup_size: 256
    .name:           bluestein_single_back_len3072_dim1_sp_op_CI_CI
    .private_segment_fixed_size: 0
    .sgpr_count:     22
    .sgpr_spill_count: 0
    .symbol:         bluestein_single_back_len3072_dim1_sp_op_CI_CI.kd
    .uniform_work_group_size: 1
    .uses_dynamic_stack: false
    .vgpr_count:     163
    .vgpr_spill_count: 0
    .wavefront_size: 32
    .workgroup_processor_mode: 1
amdhsa.target:   amdgcn-amd-amdhsa--gfx1201
amdhsa.version:
  - 1
  - 2
...

	.end_amdgpu_metadata
